;; amdgpu-corpus repo=ROCm/rocFFT kind=compiled arch=gfx1030 opt=O3
	.text
	.amdgcn_target "amdgcn-amd-amdhsa--gfx1030"
	.amdhsa_code_object_version 6
	.protected	fft_rtc_back_len578_factors_17_17_2_wgs_238_tpt_34_halfLds_sp_op_CI_CI_sbrr_dirReg ; -- Begin function fft_rtc_back_len578_factors_17_17_2_wgs_238_tpt_34_halfLds_sp_op_CI_CI_sbrr_dirReg
	.globl	fft_rtc_back_len578_factors_17_17_2_wgs_238_tpt_34_halfLds_sp_op_CI_CI_sbrr_dirReg
	.p2align	8
	.type	fft_rtc_back_len578_factors_17_17_2_wgs_238_tpt_34_halfLds_sp_op_CI_CI_sbrr_dirReg,@function
fft_rtc_back_len578_factors_17_17_2_wgs_238_tpt_34_halfLds_sp_op_CI_CI_sbrr_dirReg: ; @fft_rtc_back_len578_factors_17_17_2_wgs_238_tpt_34_halfLds_sp_op_CI_CI_sbrr_dirReg
; %bb.0:
	s_clause 0x1
	s_load_dwordx4 s[16:19], s[4:5], 0x18
	s_load_dwordx4 s[8:11], s[4:5], 0x0
	v_mul_u32_u24_e32 v1, 0x788, v0
	v_mov_b32_e32 v3, 0
	v_mov_b32_e32 v48, 0
	v_mov_b32_e32 v49, 0
	v_mov_b32_e32 v23, v48
	v_lshrrev_b32_e32 v1, 16, v1
	s_load_dwordx4 s[12:15], s[4:5], 0x58
	s_waitcnt lgkmcnt(0)
	s_load_dwordx2 s[20:21], s[16:17], 0x0
	s_load_dwordx2 s[2:3], s[18:19], 0x0
	v_mad_u64_u32 v[1:2], null, s6, 7, v[1:2]
	v_mov_b32_e32 v2, v3
	v_cmp_lt_u64_e64 s0, s[10:11], 2
	v_mov_b32_e32 v24, v49
	v_mov_b32_e32 v26, v2
	;; [unrolled: 1-line block ×3, first 2 shown]
	s_and_b32 vcc_lo, exec_lo, s0
	s_cbranch_vccnz .LBB0_8
; %bb.1:
	s_load_dwordx2 s[0:1], s[4:5], 0x10
	v_mov_b32_e32 v48, 0
	v_mov_b32_e32 v49, 0
	s_add_u32 s6, s18, 8
	v_mov_b32_e32 v6, v2
	s_addc_u32 s7, s19, 0
	v_mov_b32_e32 v23, v48
	v_mov_b32_e32 v5, v1
	s_add_u32 s22, s16, 8
	v_mov_b32_e32 v24, v49
	s_addc_u32 s23, s17, 0
	s_mov_b64 s[26:27], 1
	s_waitcnt lgkmcnt(0)
	s_add_u32 s24, s0, 8
	s_addc_u32 s25, s1, 0
.LBB0_2:                                ; =>This Inner Loop Header: Depth=1
	s_load_dwordx2 s[28:29], s[24:25], 0x0
                                        ; implicit-def: $vgpr25_vgpr26
	s_mov_b32 s0, exec_lo
	s_waitcnt lgkmcnt(0)
	v_or_b32_e32 v4, s29, v6
	v_cmpx_ne_u64_e32 0, v[3:4]
	s_xor_b32 s1, exec_lo, s0
	s_cbranch_execz .LBB0_4
; %bb.3:                                ;   in Loop: Header=BB0_2 Depth=1
	v_cvt_f32_u32_e32 v2, s28
	v_cvt_f32_u32_e32 v4, s29
	s_sub_u32 s0, 0, s28
	s_subb_u32 s30, 0, s29
	v_fmac_f32_e32 v2, 0x4f800000, v4
	v_rcp_f32_e32 v2, v2
	v_mul_f32_e32 v2, 0x5f7ffffc, v2
	v_mul_f32_e32 v4, 0x2f800000, v2
	v_trunc_f32_e32 v4, v4
	v_fmac_f32_e32 v2, 0xcf800000, v4
	v_cvt_u32_f32_e32 v4, v4
	v_cvt_u32_f32_e32 v2, v2
	v_mul_lo_u32 v7, s0, v4
	v_mul_hi_u32 v8, s0, v2
	v_mul_lo_u32 v9, s30, v2
	v_add_nc_u32_e32 v7, v8, v7
	v_mul_lo_u32 v8, s0, v2
	v_add_nc_u32_e32 v7, v7, v9
	v_mul_hi_u32 v9, v2, v8
	v_mul_lo_u32 v10, v2, v7
	v_mul_hi_u32 v11, v2, v7
	v_mul_hi_u32 v12, v4, v8
	v_mul_lo_u32 v8, v4, v8
	v_mul_hi_u32 v13, v4, v7
	v_mul_lo_u32 v7, v4, v7
	v_add_co_u32 v9, vcc_lo, v9, v10
	v_add_co_ci_u32_e32 v10, vcc_lo, 0, v11, vcc_lo
	v_add_co_u32 v8, vcc_lo, v9, v8
	v_add_co_ci_u32_e32 v8, vcc_lo, v10, v12, vcc_lo
	v_add_co_ci_u32_e32 v9, vcc_lo, 0, v13, vcc_lo
	v_add_co_u32 v7, vcc_lo, v8, v7
	v_add_co_ci_u32_e32 v8, vcc_lo, 0, v9, vcc_lo
	v_add_co_u32 v2, vcc_lo, v2, v7
	v_add_co_ci_u32_e32 v4, vcc_lo, v4, v8, vcc_lo
	v_mul_hi_u32 v7, s0, v2
	v_mul_lo_u32 v9, s30, v2
	v_mul_lo_u32 v8, s0, v4
	v_add_nc_u32_e32 v7, v7, v8
	v_mul_lo_u32 v8, s0, v2
	v_add_nc_u32_e32 v7, v7, v9
	v_mul_hi_u32 v9, v2, v8
	v_mul_lo_u32 v10, v2, v7
	v_mul_hi_u32 v11, v2, v7
	v_mul_hi_u32 v12, v4, v8
	v_mul_lo_u32 v8, v4, v8
	v_mul_hi_u32 v13, v4, v7
	v_mul_lo_u32 v7, v4, v7
	v_add_co_u32 v9, vcc_lo, v9, v10
	v_add_co_ci_u32_e32 v10, vcc_lo, 0, v11, vcc_lo
	v_add_co_u32 v8, vcc_lo, v9, v8
	v_add_co_ci_u32_e32 v8, vcc_lo, v10, v12, vcc_lo
	v_add_co_ci_u32_e32 v9, vcc_lo, 0, v13, vcc_lo
	v_add_co_u32 v7, vcc_lo, v8, v7
	v_add_co_ci_u32_e32 v8, vcc_lo, 0, v9, vcc_lo
	v_add_co_u32 v2, vcc_lo, v2, v7
	v_add_co_ci_u32_e32 v4, vcc_lo, v4, v8, vcc_lo
	v_mul_hi_u32 v13, v5, v2
	v_mad_u64_u32 v[9:10], null, v6, v2, 0
	v_mad_u64_u32 v[7:8], null, v5, v4, 0
	v_mad_u64_u32 v[11:12], null, v6, v4, 0
	v_add_co_u32 v2, vcc_lo, v13, v7
	v_add_co_ci_u32_e32 v4, vcc_lo, 0, v8, vcc_lo
	v_add_co_u32 v2, vcc_lo, v2, v9
	v_add_co_ci_u32_e32 v2, vcc_lo, v4, v10, vcc_lo
	v_add_co_ci_u32_e32 v4, vcc_lo, 0, v12, vcc_lo
	v_add_co_u32 v2, vcc_lo, v2, v11
	v_add_co_ci_u32_e32 v4, vcc_lo, 0, v4, vcc_lo
	v_mul_lo_u32 v9, s29, v2
	v_mad_u64_u32 v[7:8], null, s28, v2, 0
	v_mul_lo_u32 v10, s28, v4
	v_sub_co_u32 v7, vcc_lo, v5, v7
	v_add3_u32 v8, v8, v10, v9
	v_sub_nc_u32_e32 v9, v6, v8
	v_subrev_co_ci_u32_e64 v9, s0, s29, v9, vcc_lo
	v_add_co_u32 v10, s0, v2, 2
	v_add_co_ci_u32_e64 v11, s0, 0, v4, s0
	v_sub_co_u32 v12, s0, v7, s28
	v_sub_co_ci_u32_e32 v8, vcc_lo, v6, v8, vcc_lo
	v_subrev_co_ci_u32_e64 v9, s0, 0, v9, s0
	v_cmp_le_u32_e32 vcc_lo, s28, v12
	v_cmp_eq_u32_e64 s0, s29, v8
	v_cndmask_b32_e64 v12, 0, -1, vcc_lo
	v_cmp_le_u32_e32 vcc_lo, s29, v9
	v_cndmask_b32_e64 v13, 0, -1, vcc_lo
	v_cmp_le_u32_e32 vcc_lo, s28, v7
	;; [unrolled: 2-line block ×3, first 2 shown]
	v_cndmask_b32_e64 v14, 0, -1, vcc_lo
	v_cmp_eq_u32_e32 vcc_lo, s29, v9
	v_cndmask_b32_e64 v7, v14, v7, s0
	v_cndmask_b32_e32 v9, v13, v12, vcc_lo
	v_add_co_u32 v12, vcc_lo, v2, 1
	v_add_co_ci_u32_e32 v13, vcc_lo, 0, v4, vcc_lo
	v_cmp_ne_u32_e32 vcc_lo, 0, v9
	v_cndmask_b32_e32 v8, v13, v11, vcc_lo
	v_cndmask_b32_e32 v9, v12, v10, vcc_lo
	v_cmp_ne_u32_e32 vcc_lo, 0, v7
	v_cndmask_b32_e32 v26, v4, v8, vcc_lo
	v_cndmask_b32_e32 v25, v2, v9, vcc_lo
.LBB0_4:                                ;   in Loop: Header=BB0_2 Depth=1
	s_andn2_saveexec_b32 s0, s1
	s_cbranch_execz .LBB0_6
; %bb.5:                                ;   in Loop: Header=BB0_2 Depth=1
	v_cvt_f32_u32_e32 v2, s28
	s_sub_i32 s1, 0, s28
	v_mov_b32_e32 v26, v3
	v_rcp_iflag_f32_e32 v2, v2
	v_mul_f32_e32 v2, 0x4f7ffffe, v2
	v_cvt_u32_f32_e32 v2, v2
	v_mul_lo_u32 v4, s1, v2
	v_mul_hi_u32 v4, v2, v4
	v_add_nc_u32_e32 v2, v2, v4
	v_mul_hi_u32 v2, v5, v2
	v_mul_lo_u32 v4, v2, s28
	v_add_nc_u32_e32 v7, 1, v2
	v_sub_nc_u32_e32 v4, v5, v4
	v_subrev_nc_u32_e32 v8, s28, v4
	v_cmp_le_u32_e32 vcc_lo, s28, v4
	v_cndmask_b32_e32 v4, v4, v8, vcc_lo
	v_cndmask_b32_e32 v2, v2, v7, vcc_lo
	v_cmp_le_u32_e32 vcc_lo, s28, v4
	v_add_nc_u32_e32 v7, 1, v2
	v_cndmask_b32_e32 v25, v2, v7, vcc_lo
.LBB0_6:                                ;   in Loop: Header=BB0_2 Depth=1
	s_or_b32 exec_lo, exec_lo, s0
	v_mul_lo_u32 v2, v26, s28
	v_mul_lo_u32 v4, v25, s29
	s_load_dwordx2 s[0:1], s[22:23], 0x0
	v_mad_u64_u32 v[7:8], null, v25, s28, 0
	s_load_dwordx2 s[28:29], s[6:7], 0x0
	s_add_u32 s26, s26, 1
	s_addc_u32 s27, s27, 0
	s_add_u32 s6, s6, 8
	s_addc_u32 s7, s7, 0
	s_add_u32 s22, s22, 8
	v_add3_u32 v2, v8, v4, v2
	v_sub_co_u32 v4, vcc_lo, v5, v7
	s_addc_u32 s23, s23, 0
	s_add_u32 s24, s24, 8
	v_sub_co_ci_u32_e32 v2, vcc_lo, v6, v2, vcc_lo
	s_addc_u32 s25, s25, 0
	s_waitcnt lgkmcnt(0)
	v_mul_lo_u32 v5, s0, v2
	v_mul_lo_u32 v6, s1, v4
	v_mad_u64_u32 v[48:49], null, s0, v4, v[48:49]
	v_mul_lo_u32 v2, s28, v2
	v_mul_lo_u32 v7, s29, v4
	v_mad_u64_u32 v[23:24], null, s28, v4, v[23:24]
	v_cmp_ge_u64_e64 s0, s[26:27], s[10:11]
	v_add3_u32 v49, v6, v49, v5
	v_add3_u32 v24, v7, v24, v2
	s_and_b32 vcc_lo, exec_lo, s0
	s_cbranch_vccnz .LBB0_8
; %bb.7:                                ;   in Loop: Header=BB0_2 Depth=1
	v_mov_b32_e32 v5, v25
	v_mov_b32_e32 v6, v26
	s_branch .LBB0_2
.LBB0_8:
	s_load_dwordx2 s[0:1], s[4:5], 0x28
	v_mul_hi_u32 v4, 0x7878788, v0
	s_lshl_b64 s[6:7], s[10:11], 3
                                        ; implicit-def: $sgpr10_sgpr11
                                        ; implicit-def: $vgpr20
                                        ; implicit-def: $vgpr27
                                        ; implicit-def: $vgpr28
                                        ; implicit-def: $vgpr29
                                        ; implicit-def: $vgpr30
                                        ; implicit-def: $vgpr31
                                        ; implicit-def: $vgpr33
                                        ; implicit-def: $vgpr21
                                        ; implicit-def: $vgpr22
	s_add_u32 s4, s18, s6
	s_addc_u32 s5, s19, s7
	s_waitcnt lgkmcnt(0)
	v_cmp_gt_u64_e32 vcc_lo, s[0:1], v[25:26]
	v_cmp_le_u64_e64 s0, s[0:1], v[25:26]
	s_and_saveexec_b32 s1, s0
	s_xor_b32 s0, exec_lo, s1
; %bb.9:
	v_mul_u32_u24_e32 v2, 34, v4
	s_mov_b64 s[10:11], 0
                                        ; implicit-def: $vgpr4
                                        ; implicit-def: $vgpr48_vgpr49
	v_sub_nc_u32_e32 v20, v0, v2
                                        ; implicit-def: $vgpr0
	v_add_nc_u32_e32 v27, 34, v20
	v_add_nc_u32_e32 v28, 0x44, v20
	;; [unrolled: 1-line block ×8, first 2 shown]
; %bb.10:
	s_or_saveexec_b32 s1, s0
	v_mov_b32_e32 v2, s10
	v_mov_b32_e32 v3, s11
                                        ; implicit-def: $vgpr50
                                        ; implicit-def: $vgpr5
                                        ; implicit-def: $vgpr7
                                        ; implicit-def: $vgpr9
                                        ; implicit-def: $vgpr15
                                        ; implicit-def: $vgpr47
                                        ; implicit-def: $vgpr45
                                        ; implicit-def: $vgpr39
                                        ; implicit-def: $vgpr19
                                        ; implicit-def: $vgpr41
                                        ; implicit-def: $vgpr17
                                        ; implicit-def: $vgpr11
                                        ; implicit-def: $vgpr13
                                        ; implicit-def: $vgpr37
                                        ; implicit-def: $vgpr35
                                        ; implicit-def: $vgpr43
	s_xor_b32 exec_lo, exec_lo, s1
	s_cbranch_execz .LBB0_12
; %bb.11:
	s_add_u32 s6, s16, s6
	s_addc_u32 s7, s17, s7
	v_mul_u32_u24_e32 v2, 34, v4
	s_load_dwordx2 s[6:7], s[6:7], 0x0
	v_lshlrev_b64 v[4:5], 3, v[48:49]
	v_sub_nc_u32_e32 v20, v0, v2
	v_mad_u64_u32 v[2:3], null, s20, v20, 0
	v_add_nc_u32_e32 v27, 34, v20
	v_add_nc_u32_e32 v28, 0x44, v20
	;; [unrolled: 1-line block ×5, first 2 shown]
	v_mad_u64_u32 v[6:7], null, s20, v27, 0
	v_mov_b32_e32 v0, v3
	v_mad_u64_u32 v[8:9], null, s20, v28, 0
	s_waitcnt lgkmcnt(0)
	v_mul_lo_u32 v3, s7, v25
	v_mul_lo_u32 v15, s6, v26
	v_mad_u64_u32 v[10:11], null, s6, v25, 0
	v_mad_u64_u32 v[12:13], null, s21, v20, v[0:1]
	v_mov_b32_e32 v0, v7
	v_mad_u64_u32 v[13:14], null, s20, v29, 0
	v_mov_b32_e32 v7, v9
	v_add3_u32 v11, v11, v15, v3
	v_mad_u64_u32 v[15:16], null, s21, v27, v[0:1]
	v_mov_b32_e32 v3, v12
	v_mad_u64_u32 v[16:17], null, s20, v30, 0
	v_lshlrev_b64 v[9:10], 3, v[10:11]
	v_mad_u64_u32 v[11:12], null, s21, v28, v[7:8]
	v_mov_b32_e32 v0, v14
	v_mov_b32_e32 v7, v15
	v_add_nc_u32_e32 v33, 0xcc, v20
	v_add_co_u32 v12, s0, s12, v9
	v_add_co_ci_u32_e64 v10, s0, s13, v10, s0
	v_mov_b32_e32 v9, v11
	v_add_co_u32 v32, s0, v12, v4
	v_add_co_ci_u32_e64 v48, s0, v10, v5, s0
	v_lshlrev_b64 v[4:5], 3, v[6:7]
	v_mad_u64_u32 v[6:7], null, s21, v29, v[0:1]
	v_mov_b32_e32 v0, v17
	v_lshlrev_b64 v[7:8], 3, v[8:9]
	v_mad_u64_u32 v[9:10], null, s20, v31, 0
	v_add_nc_u32_e32 v21, 0xee, v20
	v_mad_u64_u32 v[11:12], null, s21, v30, v[0:1]
	v_mov_b32_e32 v14, v6
	v_lshlrev_b64 v[2:3], 3, v[2:3]
	v_mad_u64_u32 v[18:19], null, s20, v21, 0
	v_mov_b32_e32 v0, v10
	v_lshlrev_b64 v[12:13], 3, v[13:14]
	v_mad_u64_u32 v[14:15], null, s20, v33, 0
	v_mov_b32_e32 v17, v11
	v_mad_u64_u32 v[10:11], null, s21, v31, v[0:1]
	v_add_co_u32 v2, s0, v32, v2
	v_add_nc_u32_e32 v22, 0x110, v20
	v_mov_b32_e32 v0, v15
	v_add_co_ci_u32_e64 v3, s0, v48, v3, s0
	v_add_co_u32 v4, s0, v32, v4
	v_mad_u64_u32 v[34:35], null, s21, v33, v[0:1]
	v_add_co_ci_u32_e64 v5, s0, v48, v5, s0
	v_add_co_u32 v6, s0, v32, v7
	v_lshlrev_b64 v[16:17], 3, v[16:17]
	v_mov_b32_e32 v0, v19
	v_mov_b32_e32 v15, v34
	v_mad_u64_u32 v[34:35], null, s20, v22, 0
	v_add_co_ci_u32_e64 v7, s0, v48, v8, s0
	v_add_co_u32 v11, s0, v32, v12
	v_lshlrev_b64 v[8:9], 3, v[9:10]
	v_add_co_ci_u32_e64 v12, s0, v48, v13, s0
	v_mad_u64_u32 v[36:37], null, s21, v21, v[0:1]
	v_add_co_u32 v16, s0, v32, v16
	v_add_nc_u32_e32 v10, 0x132, v20
	v_add_co_ci_u32_e64 v17, s0, v48, v17, s0
	v_mov_b32_e32 v0, v35
	v_add_co_u32 v37, s0, v32, v8
	v_add_co_ci_u32_e64 v38, s0, v48, v9, s0
	v_lshlrev_b64 v[8:9], 3, v[14:15]
	v_mad_u64_u32 v[13:14], null, s20, v10, 0
	v_mov_b32_e32 v19, v36
	v_mad_u64_u32 v[35:36], null, s21, v22, v[0:1]
	v_add_nc_u32_e32 v36, 0x154, v20
	v_add_co_u32 v39, s0, v32, v8
	v_add_co_ci_u32_e64 v40, s0, v48, v9, s0
	v_mov_b32_e32 v0, v14
	v_lshlrev_b64 v[8:9], 3, v[18:19]
	v_mad_u64_u32 v[18:19], null, s20, v36, 0
	v_add_nc_u32_e32 v46, 0x198, v20
	v_mad_u64_u32 v[14:15], null, s21, v10, v[0:1]
	v_add_nc_u32_e32 v15, 0x176, v20
	v_add_co_u32 v41, s0, v32, v8
	v_mov_b32_e32 v0, v19
	v_add_co_ci_u32_e64 v42, s0, v48, v9, s0
	v_lshlrev_b64 v[8:9], 3, v[34:35]
	v_mad_u64_u32 v[34:35], null, s20, v15, 0
	v_mad_u64_u32 v[43:44], null, s21, v36, v[0:1]
	;; [unrolled: 1-line block ×3, first 2 shown]
	v_add_co_u32 v51, s0, v32, v8
	v_mov_b32_e32 v0, v35
	v_add_co_ci_u32_e64 v52, s0, v48, v9, s0
	v_mov_b32_e32 v19, v43
	v_mov_b32_e32 v10, v45
	v_lshlrev_b64 v[8:9], 3, v[13:14]
	v_mad_u64_u32 v[13:14], null, s21, v15, v[0:1]
	v_lshlrev_b64 v[14:15], 3, v[18:19]
	v_mad_u64_u32 v[18:19], null, s21, v46, v[10:11]
	v_add_nc_u32_e32 v10, 0x1ba, v20
	v_add_co_u32 v53, s0, v32, v8
	v_add_co_ci_u32_e64 v54, s0, v48, v9, s0
	v_mov_b32_e32 v35, v13
	v_mad_u64_u32 v[57:58], null, s20, v10, 0
	v_add_co_u32 v55, s0, v32, v14
	v_add_co_ci_u32_e64 v56, s0, v48, v15, s0
	v_add_nc_u32_e32 v15, 0x1dc, v20
	v_lshlrev_b64 v[8:9], 3, v[34:35]
	v_mov_b32_e32 v45, v18
	v_mov_b32_e32 v0, v58
	v_add_nc_u32_e32 v18, 0x1fe, v20
	v_mad_u64_u32 v[59:60], null, s20, v15, 0
	v_add_co_u32 v34, s0, v32, v8
	v_lshlrev_b64 v[13:14], 3, v[44:45]
	v_add_co_ci_u32_e64 v35, s0, v48, v9, s0
	v_mad_u64_u32 v[9:10], null, s21, v10, v[0:1]
	v_mov_b32_e32 v8, v60
	v_mad_u64_u32 v[63:64], null, s20, v18, 0
	v_add_nc_u32_e32 v36, 0x220, v20
	v_add_co_u32 v61, s0, v32, v13
	v_add_co_ci_u32_e64 v62, s0, v48, v14, s0
	v_mad_u64_u32 v[13:14], null, s21, v15, v[8:9]
	s_clause 0x3
	global_load_dwordx2 v[2:3], v[2:3], off
	global_load_dwordx2 v[49:50], v[4:5], off
	;; [unrolled: 1-line block ×4, first 2 shown]
	v_mad_u64_u32 v[10:11], null, s20, v36, 0
	v_mov_b32_e32 v0, v64
	v_mov_b32_e32 v58, v9
	s_clause 0x3
	global_load_dwordx2 v[8:9], v[16:17], off
	global_load_dwordx2 v[14:15], v[37:38], off
	;; [unrolled: 1-line block ×4, first 2 shown]
	v_mov_b32_e32 v60, v13
	v_mad_u64_u32 v[12:13], null, s21, v18, v[0:1]
	v_mov_b32_e32 v0, v11
	v_lshlrev_b64 v[16:17], 3, v[57:58]
	v_lshlrev_b64 v[40:41], 3, v[59:60]
	s_clause 0x3
	global_load_dwordx2 v[38:39], v[51:52], off
	global_load_dwordx2 v[42:43], v[53:54], off
	;; [unrolled: 1-line block ×4, first 2 shown]
	v_mad_u64_u32 v[36:37], null, s21, v36, v[0:1]
	v_mov_b32_e32 v64, v12
	v_add_co_u32 v12, s0, v32, v16
	v_add_co_ci_u32_e64 v13, s0, v48, v17, s0
	v_lshlrev_b64 v[16:17], 3, v[63:64]
	v_mov_b32_e32 v11, v36
	v_add_co_u32 v51, s0, v32, v40
	v_add_co_ci_u32_e64 v52, s0, v48, v41, s0
	v_lshlrev_b64 v[10:11], 3, v[10:11]
	v_add_co_u32 v53, s0, v32, v16
	v_add_co_ci_u32_e64 v54, s0, v48, v17, s0
	v_add_co_u32 v10, s0, v32, v10
	v_add_co_ci_u32_e64 v11, s0, v48, v11, s0
	s_clause 0x4
	global_load_dwordx2 v[40:41], v[61:62], off
	global_load_dwordx2 v[36:37], v[12:13], off
	;; [unrolled: 1-line block ×5, first 2 shown]
.LBB0_12:
	s_or_b32 exec_lo, exec_lo, s1
	s_waitcnt vmcnt(15)
	v_add_f32_e32 v0, v49, v2
	v_add_f32_e32 v48, v50, v3
	s_waitcnt vmcnt(0)
	v_add_f32_e32 v32, v50, v11
	v_sub_f32_e32 v52, v50, v11
	v_add_f32_e32 v58, v45, v19
	v_add_f32_e32 v0, v4, v0
	;; [unrolled: 1-line block ×3, first 2 shown]
	v_sub_f32_e32 v59, v44, v18
	v_sub_f32_e32 v57, v45, v19
	v_add_f32_e32 v51, v49, v10
	v_add_f32_e32 v50, v6, v0
	;; [unrolled: 1-line block ×3, first 2 shown]
	v_sub_f32_e32 v48, v49, v10
	v_add_f32_e32 v49, v38, v42
	v_sub_f32_e32 v55, v38, v42
	v_add_f32_e32 v56, v8, v50
	v_add_f32_e32 v53, v9, v53
	;; [unrolled: 1-line block ×4, first 2 shown]
	v_sub_f32_e32 v65, v47, v35
	v_add_f32_e32 v56, v14, v56
	v_add_f32_e32 v61, v15, v53
	;; [unrolled: 1-line block ×3, first 2 shown]
	v_sub_f32_e32 v54, v39, v43
	v_sub_f32_e32 v67, v15, v41
	v_add_f32_e32 v56, v46, v56
	v_add_f32_e32 v62, v47, v61
	v_mul_hi_u32 v47, 0x24924925, v1
	v_sub_f32_e32 v68, v9, v37
	v_sub_f32_e32 v69, v7, v17
	v_add_f32_e32 v44, v44, v56
	v_add_f32_e32 v45, v45, v62
	;; [unrolled: 1-line block ×8, first 2 shown]
	v_sub_f32_e32 v70, v5, v13
	v_add_f32_e32 v53, v46, v34
	v_add_f32_e32 v38, v42, v38
	v_add_f32_e32 v42, v43, v44
	v_sub_nc_u32_e32 v43, v1, v47
	v_sub_f32_e32 v61, v46, v34
	v_add_f32_e32 v39, v8, v36
	v_add_f32_e32 v18, v18, v38
	;; [unrolled: 1-line block ×3, first 2 shown]
	v_lshrrev_b32_e32 v38, 1, v43
	v_add_f32_e32 v42, v6, v16
	v_sub_f32_e32 v6, v6, v16
	v_add_f32_e32 v18, v34, v18
	v_add_f32_e32 v19, v35, v19
	v_add_nc_u32_e32 v35, v38, v47
	v_add_f32_e32 v34, v4, v12
	v_sub_f32_e32 v4, v4, v12
	v_add_f32_e32 v18, v40, v18
	v_add_f32_e32 v19, v41, v19
	v_lshrrev_b32_e32 v35, 2, v35
	v_sub_f32_e32 v8, v8, v36
	v_mul_f32_e32 v45, 0xbf65296c, v48
	v_add_f32_e32 v18, v36, v18
	v_add_f32_e32 v19, v37, v19
	v_mul_lo_u32 v5, v35, 7
	v_mul_f32_e32 v35, 0xbf65296c, v52
	v_mul_f32_e32 v36, 0xbf06c442, v52
	v_add_f32_e32 v16, v16, v18
	v_add_f32_e32 v17, v17, v19
	v_mul_f32_e32 v18, 0xbeb8f4ab, v52
	v_mul_f32_e32 v19, 0xbf2c7751, v52
	v_fmamk_f32 v72, v51, 0xbf59a7d5, v36
	v_add_f32_e32 v12, v12, v16
	v_add_f32_e32 v13, v13, v17
	v_sub_nc_u32_e32 v1, v1, v5
	v_fmamk_f32 v16, v51, 0x3f6eb680, v18
	v_fma_f32 v17, 0x3f6eb680, v51, -v18
	v_add_f32_e32 v71, v10, v12
	v_add_f32_e32 v5, v11, v13
	v_mul_f32_e32 v11, 0xbf7ee86f, v52
	v_mul_f32_e32 v12, 0xbf763a35, v52
	v_fmamk_f32 v10, v51, 0x3f3d2fb0, v19
	v_fma_f32 v13, 0x3f3d2fb0, v51, -v19
	v_fmamk_f32 v18, v51, 0x3ee437d1, v35
	v_fma_f32 v19, 0x3ee437d1, v51, -v35
	;; [unrolled: 2-line block ×3, first 2 shown]
	v_mul_f32_e32 v11, 0xbf4c4adb, v52
	v_fmamk_f32 v41, v51, 0xbe8c1d8e, v12
	v_fma_f32 v43, 0xbe8c1d8e, v51, -v12
	v_mul_f32_e32 v12, 0xbe3c28d5, v52
	v_fma_f32 v73, 0xbf59a7d5, v51, -v36
	v_mul_f32_e32 v36, 0xbf2c7751, v48
	v_fmamk_f32 v44, v51, 0xbf1a4643, v11
	v_fma_f32 v56, 0xbf1a4643, v51, -v11
	v_fmamk_f32 v74, v51, 0xbf7ba420, v12
	v_fma_f32 v75, 0xbf7ba420, v51, -v12
	v_fma_f32 v37, 0x3f3d2fb0, v32, -v36
	v_fmac_f32_e32 v36, 0x3f3d2fb0, v32
	v_fma_f32 v51, 0x3ee437d1, v32, -v45
	v_mul_f32_e32 v47, 0xbf7ee86f, v48
	v_add_f32_e32 v83, v10, v2
	v_add_f32_e32 v46, v14, v40
	;; [unrolled: 1-line block ×4, first 2 shown]
	v_mul_f32_e32 v51, 0xbf2c7751, v70
	v_sub_f32_e32 v14, v14, v40
	v_mul_f32_e32 v11, 0xbeb8f4ab, v48
	v_mul_f32_e32 v76, 0xbf763a35, v48
	v_fma_f32 v63, 0x3dbcf732, v32, -v47
	v_fmac_f32_e32 v47, 0x3dbcf732, v32
	v_mul_f32_e32 v77, 0xbf4c4adb, v48
	v_mul_f32_e32 v78, 0xbf06c442, v48
	;; [unrolled: 1-line block ×3, first 2 shown]
	v_add_f32_e32 v16, v16, v2
	v_add_f32_e32 v40, v17, v2
	v_fmamk_f32 v17, v34, 0x3f3d2fb0, v51
	v_mul_f32_e32 v48, 0xbf65296c, v69
	v_fma_f32 v12, 0x3f6eb680, v32, -v11
	v_fmac_f32_e32 v11, 0x3f6eb680, v32
	v_fmac_f32_e32 v45, 0x3ee437d1, v32
	v_add_f32_e32 v66, v13, v2
	v_add_f32_e32 v84, v18, v2
	;; [unrolled: 1-line block ×5, first 2 shown]
	v_fmamk_f32 v19, v42, 0x3ee437d1, v48
	v_mul_f32_e32 v47, 0xbf7ee86f, v68
	v_fma_f32 v64, 0xbe8c1d8e, v32, -v76
	v_fmac_f32_e32 v76, 0xbe8c1d8e, v32
	v_fma_f32 v80, 0xbf1a4643, v32, -v77
	v_fmac_f32_e32 v77, 0xbf1a4643, v32
	;; [unrolled: 2-line block ×4, first 2 shown]
	v_add_f32_e32 v32, v12, v3
	v_add_f32_e32 v12, v11, v3
	;; [unrolled: 1-line block ×5, first 2 shown]
	v_fmamk_f32 v35, v39, 0x3dbcf732, v47
	v_mul_f32_e32 v45, 0xbf763a35, v67
	v_add_f32_e32 v86, v38, v2
	v_add_f32_e32 v87, v41, v2
	;; [unrolled: 1-line block ×5, first 2 shown]
	v_fmamk_f32 v41, v46, 0xbe8c1d8e, v45
	v_mul_f32_e32 v44, 0xbf4c4adb, v65
	v_add_f32_e32 v88, v43, v2
	v_add_f32_e32 v17, v80, v3
	;; [unrolled: 1-line block ×4, first 2 shown]
	v_fmamk_f32 v56, v53, 0xbf1a4643, v44
	v_mul_f32_e32 v43, 0xbf06c442, v57
	v_add_f32_e32 v18, v77, v3
	v_add_f32_e32 v35, v81, v3
	;; [unrolled: 1-line block ×4, first 2 shown]
	v_fmamk_f32 v77, v50, 0xbf59a7d5, v43
	v_mul_f32_e32 v41, 0xbe3c28d5, v54
	v_mul_f32_e32 v78, 0xbf7ee86f, v70
	;; [unrolled: 1-line block ×3, first 2 shown]
	v_add_f32_e32 v37, v37, v3
	v_add_f32_e32 v63, v63, v3
	;; [unrolled: 1-line block ×10, first 2 shown]
	v_fmamk_f32 v56, v49, 0xbf7ba420, v41
	v_fmamk_f32 v77, v34, 0x3dbcf732, v78
	;; [unrolled: 1-line block ×3, first 2 shown]
	v_mul_f32_e32 v82, 0xbf4c4adb, v69
	v_mul_f32_e32 v89, 0x3e3c28d5, v69
	v_add_f32_e32 v3, v56, v3
	v_add_f32_e32 v56, v77, v83
	;; [unrolled: 1-line block ×3, first 2 shown]
	v_fmamk_f32 v79, v42, 0xbf1a4643, v82
	v_fmamk_f32 v83, v42, 0xbf7ba420, v89
	v_mul_f32_e32 v84, 0xbe3c28d5, v68
	v_mul_f32_e32 v90, 0x3f763a35, v68
	v_mul_u32_u24_e32 v1, 0x242, v1
	v_add_f32_e32 v79, v79, v56
	v_add_f32_e32 v77, v83, v77
	v_fmamk_f32 v83, v39, 0xbf7ba420, v84
	v_fmamk_f32 v91, v39, 0xbe8c1d8e, v90
	v_mul_f32_e32 v92, 0x3f06c442, v67
	v_mul_f32_e32 v93, 0x3f2c7751, v67
	v_lshlrev_b32_e32 v56, 2, v1
	v_add_f32_e32 v1, v83, v79
	v_add_f32_e32 v77, v91, v77
	v_fmamk_f32 v79, v46, 0xbf59a7d5, v92
	v_fmamk_f32 v83, v46, 0x3f3d2fb0, v93
	v_mul_f32_e32 v91, 0x3f763a35, v65
	v_mul_f32_e32 v94, 0xbeb8f4ab, v65
	v_add_nc_u32_e32 v95, 0, v56
	v_add_f32_e32 v79, v79, v1
	v_add_f32_e32 v77, v83, v77
	v_fmamk_f32 v83, v53, 0xbe8c1d8e, v91
	v_fmamk_f32 v96, v53, 0x3f6eb680, v94
	v_mul_f32_e32 v97, 0x3f65296c, v57
	v_mul_f32_e32 v98, 0xbf7ee86f, v57
	v_mad_u32_u24 v1, 0x44, v20, v95
	v_add_f32_e32 v79, v83, v79
	v_add_f32_e32 v77, v96, v77
	v_fmamk_f32 v83, v50, 0x3ee437d1, v97
	v_fmamk_f32 v96, v50, 0x3dbcf732, v98
	ds_write2_b32 v1, v71, v3 offset1:1
	v_mul_f32_e32 v3, 0xbe3c28d5, v70
	v_mul_f32_e32 v71, 0x3f06c442, v70
	v_add_f32_e32 v79, v83, v79
	v_add_f32_e32 v77, v96, v77
	v_mul_f32_e32 v83, 0x3eb8f4ab, v54
	v_fmamk_f32 v96, v34, 0xbf7ba420, v3
	v_fmamk_f32 v99, v34, 0xbf59a7d5, v71
	v_mul_f32_e32 v100, 0x3f763a35, v69
	v_mul_f32_e32 v101, 0x3f2c7751, v69
	v_fmamk_f32 v102, v49, 0x3f6eb680, v83
	v_add_f32_e32 v85, v96, v85
	v_add_f32_e32 v87, v99, v87
	v_fmamk_f32 v96, v42, 0xbe8c1d8e, v100
	v_fmamk_f32 v99, v42, 0x3f3d2fb0, v101
	v_mul_f32_e32 v103, 0x3eb8f4ab, v68
	v_mul_f32_e32 v104, 0xbf65296c, v68
	v_add_f32_e32 v79, v102, v79
	v_add_f32_e32 v85, v96, v85
	v_add_f32_e32 v87, v99, v87
	v_fmamk_f32 v96, v39, 0x3f6eb680, v103
	v_fmamk_f32 v99, v39, 0x3ee437d1, v104
	v_mul_f32_e32 v102, 0xbf65296c, v67
	v_mul_f32_e32 v105, 0xbe3c28d5, v67
	;; [unrolled: 1-line block ×3, first 2 shown]
	v_add_f32_e32 v85, v96, v85
	v_add_f32_e32 v87, v99, v87
	v_fmamk_f32 v96, v46, 0x3ee437d1, v102
	v_fmamk_f32 v99, v46, 0xbf7ba420, v105
	v_mul_f32_e32 v107, 0xbf06c442, v65
	v_mul_f32_e32 v108, 0x3f7ee86f, v65
	v_fmamk_f32 v109, v49, 0xbf59a7d5, v106
	v_add_f32_e32 v85, v96, v85
	v_add_f32_e32 v87, v99, v87
	v_fmamk_f32 v96, v53, 0xbf59a7d5, v107
	v_fmamk_f32 v99, v53, 0x3dbcf732, v108
	v_mul_f32_e32 v110, 0x3f4c4adb, v57
	v_mul_f32_e32 v111, 0xbeb8f4ab, v57
	v_add_f32_e32 v77, v109, v77
	v_add_f32_e32 v85, v96, v85
	;; [unrolled: 1-line block ×3, first 2 shown]
	v_fmamk_f32 v96, v50, 0xbf1a4643, v110
	v_fmamk_f32 v99, v50, 0x3f6eb680, v111
	v_mul_f32_e32 v112, 0x3f763a35, v70
	ds_write2_b32 v1, v79, v77 offset0:2 offset1:3
	v_mul_f32_e32 v109, 0x3f2c7751, v54
	v_add_f32_e32 v77, v96, v85
	v_add_f32_e32 v79, v99, v87
	v_fmamk_f32 v85, v34, 0xbe8c1d8e, v112
	v_mul_f32_e32 v87, 0x3f65296c, v70
	v_mul_f32_e32 v96, 0xbeb8f4ab, v69
	;; [unrolled: 1-line block ×4, first 2 shown]
	v_add_f32_e32 v76, v85, v76
	v_fmamk_f32 v85, v34, 0x3ee437d1, v87
	v_fmamk_f32 v115, v42, 0x3f6eb680, v96
	;; [unrolled: 1-line block ×4, first 2 shown]
	v_mul_f32_e32 v117, 0xbf06c442, v68
	v_add_f32_e32 v72, v85, v72
	v_add_f32_e32 v76, v115, v76
	v_fmamk_f32 v85, v42, 0x3dbcf732, v116
	v_mul_f32_e32 v115, 0x3f4c4adb, v68
	v_add_f32_e32 v77, v99, v77
	v_fmamk_f32 v99, v39, 0xbf59a7d5, v117
	v_mul_f32_e32 v118, 0x3f7ee86f, v67
	v_add_f32_e32 v79, v114, v79
	v_add_f32_e32 v72, v85, v72
	v_fmamk_f32 v85, v39, 0xbf1a4643, v115
	v_mul_f32_e32 v114, 0xbeb8f4ab, v67
	v_mul_f32_e32 v70, 0x3eb8f4ab, v70
	v_add_f32_e32 v76, v99, v76
	v_fmamk_f32 v99, v46, 0x3dbcf732, v118
	v_mul_f32_e32 v119, 0xbf2c7751, v65
	ds_write2_b32 v1, v77, v79 offset0:4 offset1:5
	v_add_f32_e32 v72, v85, v72
	v_fmamk_f32 v77, v46, 0x3f6eb680, v114
	v_mul_f32_e32 v85, 0xbe3c28d5, v65
	v_fmamk_f32 v120, v34, 0x3f6eb680, v70
	v_fma_f32 v70, 0x3f6eb680, v34, -v70
	v_mul_f32_e32 v69, 0xbf06c442, v69
	v_add_f32_e32 v76, v99, v76
	v_fmamk_f32 v79, v53, 0x3f3d2fb0, v119
	v_mul_f32_e32 v99, 0xbe3c28d5, v57
	v_add_f32_e32 v72, v77, v72
	v_fmamk_f32 v77, v53, 0xbf7ba420, v85
	v_add_f32_e32 v74, v120, v74
	v_add_f32_e32 v70, v70, v75
	v_fmamk_f32 v75, v42, 0xbf59a7d5, v69
	v_fma_f32 v69, 0xbf59a7d5, v42, -v69
	v_mul_f32_e32 v68, 0x3f2c7751, v68
	v_add_f32_e32 v76, v79, v76
	v_fmamk_f32 v79, v50, 0xbf7ba420, v99
	v_add_f32_e32 v72, v77, v72
	v_mul_f32_e32 v77, 0x3f2c7751, v57
	v_add_f32_e32 v74, v75, v74
	v_add_f32_e32 v69, v69, v70
	v_fmamk_f32 v70, v39, 0x3f3d2fb0, v68
	v_fma_f32 v68, 0x3f3d2fb0, v39, -v68
	v_mul_f32_e32 v67, 0xbf4c4adb, v67
	v_add_f32_e32 v76, v79, v76
	v_mul_f32_e32 v79, 0x3f65296c, v54
	v_fmamk_f32 v75, v50, 0x3f3d2fb0, v77
	v_add_f32_e32 v70, v70, v74
	v_add_f32_e32 v68, v68, v69
	v_fmamk_f32 v69, v46, 0xbf1a4643, v67
	v_mul_f32_e32 v65, 0x3f65296c, v65
	v_fma_f32 v67, 0xbf1a4643, v46, -v67
	v_fmamk_f32 v120, v49, 0x3ee437d1, v79
	v_add_f32_e32 v72, v75, v72
	v_add_f32_e32 v69, v69, v70
	v_fmamk_f32 v70, v53, 0x3ee437d1, v65
	v_add_f32_e32 v67, v67, v68
	v_mul_f32_e32 v57, 0xbf763a35, v57
	v_fma_f32 v68, 0xbe8c1d8e, v34, -v112
	v_fma_f32 v75, 0x3ee437d1, v34, -v87
	v_add_f32_e32 v74, v120, v76
	v_add_f32_e32 v69, v70, v69
	v_fma_f32 v65, 0x3ee437d1, v53, -v65
	v_fmamk_f32 v70, v50, 0xbe8c1d8e, v57
	v_add_f32_e32 v68, v68, v80
	v_add_f32_e32 v73, v75, v73
	v_fma_f32 v75, 0x3f6eb680, v42, -v96
	v_fma_f32 v76, 0x3dbcf732, v42, -v116
	v_add_f32_e32 v65, v65, v67
	v_add_f32_e32 v67, v70, v69
	v_mul_f32_e32 v69, 0xbf763a35, v54
	v_add_f32_e32 v68, v75, v68
	v_add_f32_e32 v70, v76, v73
	v_fma_f32 v73, 0xbf59a7d5, v39, -v117
	v_fma_f32 v75, 0xbf1a4643, v39, -v115
	;; [unrolled: 1-line block ×3, first 2 shown]
	v_mul_f32_e32 v54, 0x3f7ee86f, v54
	v_fma_f32 v3, 0xbf7ba420, v34, -v3
	v_add_f32_e32 v68, v73, v68
	v_add_f32_e32 v70, v75, v70
	v_fma_f32 v73, 0x3dbcf732, v46, -v118
	v_fma_f32 v75, 0x3f6eb680, v46, -v114
	v_add_f32_e32 v57, v57, v65
	v_fmamk_f32 v65, v49, 0x3dbcf732, v54
	v_fma_f32 v54, 0x3dbcf732, v49, -v54
	v_add_f32_e32 v68, v73, v68
	v_add_f32_e32 v70, v75, v70
	v_fma_f32 v73, 0x3f3d2fb0, v53, -v119
	v_fma_f32 v75, 0xbf7ba420, v53, -v85
	v_add_f32_e32 v65, v65, v67
	v_add_f32_e32 v54, v54, v57
	;; [unrolled: 1-line block ×5, first 2 shown]
	v_fma_f32 v68, 0xbf7ba420, v50, -v99
	v_fma_f32 v70, 0x3f3d2fb0, v50, -v77
	ds_write2_b32 v1, v65, v54 offset0:8 offset1:9
	v_fma_f32 v65, 0xbf59a7d5, v34, -v71
	v_fmamk_f32 v76, v49, 0xbe8c1d8e, v69
	v_add_f32_e32 v54, v68, v57
	v_add_f32_e32 v57, v70, v67
	v_fma_f32 v67, 0xbe8c1d8e, v42, -v100
	v_fma_f32 v68, 0x3ee437d1, v49, -v79
	;; [unrolled: 1-line block ×3, first 2 shown]
	v_add_f32_e32 v65, v65, v88
	v_fma_f32 v70, 0x3f3d2fb0, v42, -v101
	v_add_f32_e32 v3, v67, v3
	v_fma_f32 v67, 0x3f6eb680, v39, -v103
	v_add_f32_e32 v54, v68, v54
	v_add_f32_e32 v57, v69, v57
	;; [unrolled: 1-line block ×3, first 2 shown]
	v_fma_f32 v68, 0x3ee437d1, v39, -v104
	v_add_f32_e32 v3, v67, v3
	v_fma_f32 v67, 0x3ee437d1, v46, -v102
	v_fma_f32 v69, 0x3dbcf732, v34, -v78
	ds_write2_b32 v1, v57, v54 offset0:10 offset1:11
	v_add_f32_e32 v54, v68, v65
	v_fma_f32 v57, 0xbf7ba420, v46, -v105
	v_add_f32_e32 v3, v67, v3
	v_add_f32_e32 v65, v69, v66
	v_fma_f32 v66, 0xbf1a4643, v34, -v81
	v_fma_f32 v67, 0xbf1a4643, v42, -v82
	v_add_f32_e32 v54, v57, v54
	v_fma_f32 v57, 0xbf59a7d5, v53, -v107
	v_fma_f32 v68, 0x3dbcf732, v53, -v108
	v_add_f32_e32 v52, v66, v52
	v_add_f32_e32 v65, v67, v65
	v_fma_f32 v66, 0xbf7ba420, v42, -v89
	v_fma_f32 v67, 0xbf7ba420, v39, -v84
	v_add_f32_e32 v3, v57, v3
	v_fma_f32 v57, 0xbf1a4643, v50, -v110
	v_fma_f32 v34, 0x3f3d2fb0, v34, -v51
	v_add_f32_e32 v52, v66, v52
	v_add_f32_e32 v65, v67, v65
	v_fma_f32 v66, 0xbe8c1d8e, v39, -v90
	v_fma_f32 v67, 0xbf59a7d5, v46, -v92
	v_add_f32_e32 v54, v68, v54
	v_add_f32_e32 v3, v57, v3
	v_fma_f32 v57, 0x3f6eb680, v50, -v111
	v_add_f32_e32 v52, v66, v52
	v_add_f32_e32 v65, v67, v65
	v_fma_f32 v66, 0x3f3d2fb0, v46, -v93
	v_fma_f32 v67, 0xbe8c1d8e, v53, -v91
	v_add_f32_e32 v34, v34, v40
	v_fma_f32 v40, 0x3ee437d1, v42, -v48
	v_add_f32_e32 v54, v57, v54
	;; [unrolled: 2-line block ×3, first 2 shown]
	v_add_f32_e32 v65, v67, v65
	v_fma_f32 v66, 0x3f6eb680, v53, -v94
	v_fma_f32 v67, 0x3ee437d1, v50, -v97
	v_mul_f32_e32 v73, 0xbf2c7751, v4
	v_add_f32_e32 v34, v40, v34
	v_fma_f32 v39, 0x3dbcf732, v39, -v47
	v_add_f32_e32 v54, v57, v54
	v_add_f32_e32 v51, v66, v52
	;; [unrolled: 1-line block ×3, first 2 shown]
	v_fma_f32 v57, 0x3f3d2fb0, v7, -v73
	v_mul_f32_e32 v65, 0xbf65296c, v6
	v_add_f32_e32 v34, v39, v34
	v_fma_f32 v39, 0xbe8c1d8e, v46, -v45
	v_fma_f32 v42, 0x3dbcf732, v50, -v98
	v_add_f32_e32 v32, v57, v32
	v_fma_f32 v48, 0x3ee437d1, v9, -v65
	v_mul_f32_e32 v75, 0xbf7ee86f, v8
	v_add_f32_e32 v34, v39, v34
	v_fma_f32 v39, 0xbf1a4643, v53, -v44
	v_add_f32_e32 v72, v76, v72
	v_fma_f32 v68, 0x3f3d2fb0, v49, -v109
	v_add_f32_e32 v40, v42, v51
	v_add_f32_e32 v32, v48, v32
	v_fma_f32 v42, 0x3dbcf732, v15, -v75
	v_mul_f32_e32 v76, 0xbf763a35, v14
	v_add_f32_e32 v34, v39, v34
	v_fma_f32 v39, 0xbf59a7d5, v50, -v43
	v_add_f32_e32 v3, v68, v3
	v_add_f32_e32 v32, v42, v32
	v_fma_f32 v42, 0xbe8c1d8e, v62, -v76
	v_mul_f32_e32 v77, 0xbf4c4adb, v61
	v_add_f32_e32 v34, v39, v34
	v_fma_f32 v39, 0xbf7ba420, v49, -v41
	v_mul_f32_e32 v78, 0xbf06c442, v59
	v_add_f32_e32 v32, v42, v32
	v_fma_f32 v42, 0xbf1a4643, v60, -v77
	ds_write2_b32 v1, v54, v3 offset0:12 offset1:13
	v_add_f32_e32 v3, v39, v34
	v_mul_f32_e32 v79, 0xbe3c28d5, v55
	v_fma_f32 v45, 0x3f6eb680, v49, -v83
	v_add_f32_e32 v32, v42, v32
	v_fma_f32 v42, 0xbf59a7d5, v58, -v78
	ds_write_b32 v1, v3 offset:64
	v_mul_f32_e32 v3, 0xbf7ee86f, v4
	v_fma_f32 v43, 0xbf59a7d5, v49, -v106
	v_fma_f32 v41, 0xbf7ba420, v0, -v79
	v_add_f32_e32 v32, v42, v32
	v_mul_f32_e32 v81, 0xbf4c4adb, v4
	v_fma_f32 v39, 0x3dbcf732, v7, -v3
	v_mul_f32_e32 v82, 0xbf4c4adb, v6
	v_add_f32_e32 v44, v45, v52
	v_add_f32_e32 v40, v43, v40
	;; [unrolled: 1-line block ×4, first 2 shown]
	v_fma_f32 v41, 0xbf1a4643, v7, -v81
	v_fma_f32 v42, 0xbf1a4643, v9, -v82
	v_mul_f32_e32 v83, 0x3e3c28d5, v6
	v_mul_f32_e32 v84, 0xbe3c28d5, v8
	ds_write2_b32 v1, v40, v44 offset0:14 offset1:15
	v_add_f32_e32 v36, v41, v36
	v_add_f32_e32 v37, v42, v37
	v_fma_f32 v43, 0xbf7ba420, v9, -v83
	v_fma_f32 v44, 0xbf7ba420, v15, -v84
	v_mul_f32_e32 v85, 0x3f763a35, v8
	v_mul_f32_e32 v86, 0x3f06c442, v14
	;; [unrolled: 1-line block ×3, first 2 shown]
	v_add_f32_e32 v36, v43, v36
	v_add_f32_e32 v37, v44, v37
	v_fma_f32 v87, 0xbe8c1d8e, v15, -v85
	v_fma_f32 v88, 0xbf59a7d5, v62, -v86
	v_mul_f32_e32 v90, 0x3f763a35, v61
	v_lshlrev_b32_e32 v34, 2, v20
	v_fma_f32 v91, 0x3f3d2fb0, v62, -v89
	v_add_f32_e32 v87, v87, v36
	v_add_f32_e32 v88, v88, v37
	v_fma_f32 v92, 0xbe8c1d8e, v60, -v90
	v_mul_f32_e32 v93, 0xbeb8f4ab, v61
	v_mul_f32_e32 v94, 0x3f65296c, v59
	v_add_nc_u32_e32 v32, v95, v34
	v_lshl_add_u32 v46, v27, 2, v95
	v_lshl_add_u32 v47, v28, 2, v95
	;; [unrolled: 1-line block ×8, first 2 shown]
	v_add_f32_e32 v87, v91, v87
	v_add_f32_e32 v88, v92, v88
	v_fma_f32 v91, 0x3f6eb680, v60, -v93
	v_fma_f32 v92, 0x3ee437d1, v58, -v94
	v_mul_f32_e32 v95, 0xbf7ee86f, v59
	v_mul_f32_e32 v96, 0xbe3c28d5, v4
	;; [unrolled: 1-line block ×3, first 2 shown]
	v_add_f32_e32 v87, v91, v87
	v_add_f32_e32 v88, v92, v88
	v_fma_f32 v91, 0x3dbcf732, v58, -v95
	v_fma_f32 v92, 0xbf7ba420, v7, -v96
	;; [unrolled: 1-line block ×3, first 2 shown]
	v_mul_f32_e32 v99, 0x3f763a35, v6
	v_mul_f32_e32 v100, 0x3f2c7751, v6
	v_add_f32_e32 v87, v91, v87
	v_add_f32_e32 v63, v92, v63
	;; [unrolled: 1-line block ×3, first 2 shown]
	v_fma_f32 v91, 0xbe8c1d8e, v9, -v99
	v_fma_f32 v92, 0x3f3d2fb0, v9, -v100
	v_mul_f32_e32 v98, 0x3eb8f4ab, v8
	v_mul_f32_e32 v101, 0xbf65296c, v8
	v_mul_f32_e32 v102, 0x3eb8f4ab, v55
	v_add_f32_e32 v63, v91, v63
	v_add_f32_e32 v64, v92, v64
	v_fma_f32 v91, 0x3f6eb680, v15, -v98
	v_fma_f32 v92, 0x3ee437d1, v15, -v101
	v_mul_f32_e32 v103, 0xbf65296c, v14
	v_mul_f32_e32 v104, 0xbe3c28d5, v14
	v_fma_f32 v105, 0x3f6eb680, v0, -v102
	v_add_f32_e32 v63, v91, v63
	v_add_f32_e32 v64, v92, v64
	v_fma_f32 v91, 0x3ee437d1, v62, -v103
	v_fma_f32 v92, 0xbf7ba420, v62, -v104
	v_mul_f32_e32 v106, 0xbf06c442, v61
	v_mul_f32_e32 v107, 0x3f7ee86f, v61
	v_add_f32_e32 v88, v105, v88
	v_add_f32_e32 v63, v91, v63
	;; [unrolled: 1-line block ×3, first 2 shown]
	v_fma_f32 v91, 0xbf59a7d5, v60, -v106
	v_fma_f32 v92, 0x3dbcf732, v60, -v107
	v_mul_f32_e32 v105, 0x3f4c4adb, v59
	v_mul_f32_e32 v108, 0xbeb8f4ab, v59
	;; [unrolled: 1-line block ×3, first 2 shown]
	v_add_f32_e32 v63, v91, v63
	v_add_f32_e32 v64, v92, v64
	v_fma_f32 v91, 0xbf1a4643, v58, -v105
	v_fma_f32 v92, 0x3f6eb680, v58, -v108
	v_mul_f32_e32 v110, 0x3f2c7751, v55
	v_mul_f32_e32 v111, 0xbf4c4adb, v55
	v_add3_u32 v34, 0, v34, v56
	v_fma_f32 v112, 0xbf59a7d5, v0, -v109
	v_add_f32_e32 v63, v91, v63
	v_add_f32_e32 v64, v92, v64
	v_fma_f32 v91, 0x3f3d2fb0, v0, -v110
	v_fma_f32 v92, 0xbf1a4643, v0, -v111
	v_add_nc_u32_e32 v53, 0x400, v34
	v_add_nc_u32_e32 v54, 0x600, v34
	v_fmac_f32_e32 v73, 0x3f3d2fb0, v7
	v_add_f32_e32 v87, v112, v87
	v_add_f32_e32 v63, v91, v63
	;; [unrolled: 1-line block ×3, first 2 shown]
	ds_write2_b32 v1, v74, v72 offset0:6 offset1:7
	s_load_dwordx2 s[4:5], s[4:5], 0x0
	s_waitcnt lgkmcnt(0)
	s_barrier
	buffer_gl0_inv
	ds_read_b32 v57, v32
	ds_read_b32 v74, v46
	;; [unrolled: 1-line block ×9, first 2 shown]
	ds_read2_b32 v[39:40], v53 offset0:50 offset1:84
	ds_read2_b32 v[41:42], v53 offset0:118 offset1:152
	;; [unrolled: 1-line block ×4, first 2 shown]
	s_waitcnt lgkmcnt(0)
	s_barrier
	buffer_gl0_inv
	ds_write2_b32 v1, v5, v80 offset1:1
	ds_write2_b32 v1, v88, v87 offset0:2 offset1:3
	ds_write2_b32 v1, v63, v64 offset0:4 offset1:5
	v_fmac_f32_e32 v3, 0x3dbcf732, v7
	v_add_f32_e32 v5, v73, v12
	v_fmac_f32_e32 v81, 0xbf1a4643, v7
	v_mul_f32_e32 v12, 0x3f763a35, v4
	v_mul_f32_e32 v63, 0x3f65296c, v4
	;; [unrolled: 1-line block ×3, first 2 shown]
	v_add_f32_e32 v3, v3, v10
	v_add_f32_e32 v10, v81, v11
	v_fma_f32 v11, 0xbe8c1d8e, v7, -v12
	v_fmac_f32_e32 v65, 0x3ee437d1, v9
	v_fma_f32 v64, 0x3f6eb680, v7, -v4
	v_fmac_f32_e32 v4, 0x3f6eb680, v7
	v_fmac_f32_e32 v12, 0xbe8c1d8e, v7
	v_add_f32_e32 v11, v11, v17
	v_fma_f32 v17, 0x3ee437d1, v7, -v63
	v_fmac_f32_e32 v63, 0x3ee437d1, v7
	v_add_f32_e32 v2, v4, v2
	v_add_f32_e32 v4, v65, v5
	v_mul_f32_e32 v5, 0xbeb8f4ab, v6
	v_fmac_f32_e32 v96, 0xbf7ba420, v7
	v_fmac_f32_e32 v97, 0xbf59a7d5, v7
	v_add_f32_e32 v7, v12, v18
	v_add_f32_e32 v12, v17, v35
	;; [unrolled: 1-line block ×3, first 2 shown]
	v_fma_f32 v19, 0x3f6eb680, v9, -v5
	v_mul_f32_e32 v35, 0xbf7ee86f, v6
	v_mul_f32_e32 v6, 0xbf06c442, v6
	v_add_f32_e32 v18, v64, v38
	v_fmac_f32_e32 v5, 0x3f6eb680, v9
	v_add_f32_e32 v11, v19, v11
	v_fma_f32 v19, 0x3dbcf732, v9, -v35
	v_fma_f32 v38, 0xbf59a7d5, v9, -v6
	v_fmac_f32_e32 v6, 0xbf59a7d5, v9
	v_fmac_f32_e32 v35, 0x3dbcf732, v9
	v_add_f32_e32 v5, v5, v7
	v_add_f32_e32 v7, v19, v12
	;; [unrolled: 1-line block ×4, first 2 shown]
	v_mul_f32_e32 v6, 0xbf06c442, v8
	v_mul_f32_e32 v18, 0x3f4c4adb, v8
	;; [unrolled: 1-line block ×3, first 2 shown]
	v_add_f32_e32 v16, v97, v16
	v_fmac_f32_e32 v82, 0xbf1a4643, v9
	v_fmac_f32_e32 v83, 0xbf7ba420, v9
	;; [unrolled: 1-line block ×4, first 2 shown]
	v_add_f32_e32 v9, v35, v17
	v_fma_f32 v17, 0xbf59a7d5, v15, -v6
	v_fma_f32 v19, 0x3f3d2fb0, v15, -v8
	v_fmac_f32_e32 v8, 0x3f3d2fb0, v15
	v_add_f32_e32 v16, v100, v16
	v_fmac_f32_e32 v101, 0x3ee437d1, v15
	v_add_f32_e32 v11, v17, v11
	v_fmac_f32_e32 v6, 0xbf59a7d5, v15
	v_fma_f32 v17, 0xbf1a4643, v15, -v18
	v_fmac_f32_e32 v18, 0xbf1a4643, v15
	v_add_f32_e32 v2, v8, v2
	v_mul_f32_e32 v8, 0x3f7ee86f, v14
	v_fmac_f32_e32 v75, 0x3dbcf732, v15
	v_fmac_f32_e32 v84, 0xbf7ba420, v15
	;; [unrolled: 1-line block ×4, first 2 shown]
	v_add_f32_e32 v16, v101, v16
	v_add_f32_e32 v5, v6, v5
	;; [unrolled: 1-line block ×5, first 2 shown]
	v_fmac_f32_e32 v104, 0xbf7ba420, v62
	v_fma_f32 v12, 0x3dbcf732, v62, -v8
	v_mul_f32_e32 v15, 0xbeb8f4ab, v14
	v_mul_f32_e32 v14, 0xbf4c4adb, v14
	v_fmac_f32_e32 v8, 0x3dbcf732, v62
	v_add_f32_e32 v16, v104, v16
	v_add_f32_e32 v11, v12, v11
	v_fma_f32 v12, 0x3f6eb680, v62, -v15
	v_fmac_f32_e32 v15, 0x3f6eb680, v62
	v_fma_f32 v17, 0xbf1a4643, v62, -v14
	v_fmac_f32_e32 v107, 0x3dbcf732, v60
	v_add_f32_e32 v3, v82, v3
	v_fmac_f32_e32 v14, 0xbf1a4643, v62
	v_add_f32_e32 v5, v8, v5
	v_add_f32_e32 v7, v15, v7
	;; [unrolled: 1-line block ×3, first 2 shown]
	v_mul_f32_e32 v9, 0xbf2c7751, v61
	v_add_f32_e32 v15, v107, v16
	v_mul_f32_e32 v16, 0x3f65296c, v61
	v_add_f32_e32 v3, v84, v3
	v_fmac_f32_e32 v86, 0xbf59a7d5, v62
	v_add_f32_e32 v6, v12, v6
	v_add_f32_e32 v2, v14, v2
	v_fma_f32 v12, 0x3f3d2fb0, v60, -v9
	v_mul_f32_e32 v14, 0xbe3c28d5, v61
	v_fmac_f32_e32 v9, 0x3f3d2fb0, v60
	v_fma_f32 v17, 0x3ee437d1, v60, -v16
	v_fmac_f32_e32 v16, 0x3ee437d1, v60
	v_add_f32_e32 v3, v86, v3
	v_fmac_f32_e32 v90, 0xbe8c1d8e, v60
	v_add_f32_e32 v11, v12, v11
	v_fma_f32 v12, 0xbf7ba420, v60, -v14
	v_fmac_f32_e32 v14, 0xbf7ba420, v60
	v_add_f32_e32 v5, v9, v5
	v_add_f32_e32 v2, v16, v2
	v_mul_f32_e32 v9, 0xbe3c28d5, v59
	v_mul_f32_e32 v16, 0xbf763a35, v59
	v_add_f32_e32 v3, v90, v3
	v_add_f32_e32 v6, v12, v6
	;; [unrolled: 1-line block ×4, first 2 shown]
	v_fmac_f32_e32 v94, 0x3ee437d1, v58
	v_fma_f32 v12, 0xbf7ba420, v58, -v9
	v_mul_f32_e32 v14, 0x3f2c7751, v59
	v_fmac_f32_e32 v9, 0xbf7ba420, v58
	v_fma_f32 v17, 0xbe8c1d8e, v58, -v16
	v_fmac_f32_e32 v16, 0xbe8c1d8e, v58
	v_add_f32_e32 v13, v96, v13
	v_add_f32_e32 v3, v94, v3
	;; [unrolled: 1-line block ×3, first 2 shown]
	v_fma_f32 v12, 0x3f3d2fb0, v58, -v14
	v_add_f32_e32 v5, v9, v5
	v_add_f32_e32 v9, v16, v2
	v_fmac_f32_e32 v102, 0x3f6eb680, v0
	v_mul_f32_e32 v2, 0x3f65296c, v55
	v_add_f32_e32 v13, v99, v13
	v_fmac_f32_e32 v14, 0x3f3d2fb0, v58
	v_add_f32_e32 v6, v12, v6
	v_add_f32_e32 v12, v102, v3
	v_fma_f32 v3, 0x3ee437d1, v0, -v2
	v_fmac_f32_e32 v2, 0x3ee437d1, v0
	v_mul_f32_e32 v16, 0x3f7ee86f, v55
	v_subrev_nc_u32_e32 v35, 17, v20
	v_cmp_gt_u32_e64 s0, 17, v20
	v_add_f32_e32 v10, v83, v10
	v_add_f32_e32 v4, v75, v4
	v_fmac_f32_e32 v76, 0xbe8c1d8e, v62
	v_add_f32_e32 v13, v98, v13
	v_fmac_f32_e32 v103, 0x3ee437d1, v62
	v_add_f32_e32 v7, v14, v7
	v_add_f32_e32 v8, v17, v8
	v_mul_f32_e32 v14, 0xbf763a35, v55
	v_add_f32_e32 v5, v2, v5
	v_fma_f32 v2, 0x3dbcf732, v0, -v16
	v_cndmask_b32_e64 v75, v35, v20, s0
	v_add_f32_e32 v10, v85, v10
	v_fmac_f32_e32 v89, 0x3f3d2fb0, v62
	v_add_f32_e32 v4, v76, v4
	v_fmac_f32_e32 v77, 0xbf1a4643, v60
	;; [unrolled: 2-line block ×3, first 2 shown]
	v_fmac_f32_e32 v79, 0xbf7ba420, v0
	v_fmac_f32_e32 v109, 0xbf59a7d5, v0
	;; [unrolled: 1-line block ×4, first 2 shown]
	v_fma_f32 v17, 0xbe8c1d8e, v0, -v14
	v_add_f32_e32 v11, v3, v11
	v_fmac_f32_e32 v16, 0x3dbcf732, v0
	v_fmac_f32_e32 v14, 0xbe8c1d8e, v0
	v_add_f32_e32 v0, v2, v8
	v_lshlrev_b32_e32 v2, 4, v75
	v_mov_b32_e32 v3, 0
	v_add_f32_e32 v10, v89, v10
	v_fmac_f32_e32 v93, 0x3f6eb680, v60
	v_add_f32_e32 v4, v77, v4
	v_fmac_f32_e32 v78, 0xbf59a7d5, v58
	;; [unrolled: 2-line block ×3, first 2 shown]
	v_fmac_f32_e32 v108, 0x3f6eb680, v58
	v_lshlrev_b64 v[2:3], 3, v[2:3]
	v_add_f32_e32 v10, v93, v10
	v_fmac_f32_e32 v95, 0x3dbcf732, v58
	v_add_f32_e32 v4, v78, v4
	v_add_f32_e32 v13, v105, v13
	;; [unrolled: 1-line block ×3, first 2 shown]
	v_add_co_u32 v2, s1, s8, v2
	v_add_f32_e32 v10, v95, v10
	v_add_f32_e32 v4, v79, v4
	;; [unrolled: 1-line block ×4, first 2 shown]
	v_add_co_ci_u32_e64 v3, s1, s9, v3, s1
	v_add_f32_e32 v7, v14, v7
	v_add_f32_e32 v13, v110, v13
	;; [unrolled: 1-line block ×4, first 2 shown]
	ds_write2_b32 v1, v11, v6 offset0:6 offset1:7
	ds_write2_b32 v1, v0, v8 offset0:8 offset1:9
	ds_write2_b32 v1, v7, v5 offset0:10 offset1:11
	ds_write2_b32 v1, v9, v13 offset0:12 offset1:13
	ds_write2_b32 v1, v10, v12 offset0:14 offset1:15
	ds_write_b32 v1, v4 offset:64
	s_waitcnt lgkmcnt(0)
	s_barrier
	buffer_gl0_inv
	s_clause 0x7
	global_load_dwordx4 v[62:65], v[2:3], off offset:64
	global_load_dwordx4 v[76:79], v[2:3], off offset:80
	;; [unrolled: 1-line block ×4, first 2 shown]
	global_load_dwordx4 v[12:15], v[2:3], off
	global_load_dwordx4 v[8:11], v[2:3], off offset:16
	global_load_dwordx4 v[16:19], v[2:3], off offset:32
	;; [unrolled: 1-line block ×3, first 2 shown]
	ds_read2_b32 v[84:85], v53 offset0:50 offset1:84
	ds_read2_b32 v[86:87], v53 offset0:118 offset1:152
	;; [unrolled: 1-line block ×3, first 2 shown]
	v_cmp_lt_u32_e64 s1, 16, v20
	v_lshlrev_b32_e32 v75, 2, v75
	s_waitcnt vmcnt(7) lgkmcnt(2)
	v_mul_f32_e32 v55, v84, v63
	v_mul_f32_e32 v59, v39, v63
	s_waitcnt vmcnt(6) lgkmcnt(1)
	v_mul_f32_e32 v60, v86, v77
	v_mul_f32_e32 v58, v85, v65
	;; [unrolled: 1-line block ×3, first 2 shown]
	v_fmac_f32_e32 v55, v39, v62
	ds_read2_b32 v[38:39], v54 offset0:126 offset1:160
	v_fmac_f32_e32 v60, v41, v76
	v_mul_f32_e32 v41, v41, v77
	v_mul_f32_e32 v61, v87, v79
	v_fmac_f32_e32 v58, v40, v64
	v_fma_f32 v40, v84, v62, -v59
	s_waitcnt vmcnt(5) lgkmcnt(1)
	v_mul_f32_e32 v62, v88, v81
	v_fma_f32 v41, v86, v76, -v41
	ds_read_b32 v76, v46
	v_fma_f32 v59, v85, v64, -v63
	v_mul_f32_e32 v63, v89, v83
	v_mul_f32_e32 v64, v44, v83
	ds_read_b32 v83, v47
	ds_read_b32 v84, v48
	v_fmac_f32_e32 v61, v42, v78
	v_mul_f32_e32 v42, v42, v79
	v_fmac_f32_e32 v62, v43, v80
	v_mul_f32_e32 v43, v43, v81
	v_fmac_f32_e32 v63, v44, v82
	ds_read_b32 v44, v49
	s_waitcnt vmcnt(4) lgkmcnt(4)
	v_mul_f32_e32 v65, v38, v5
	v_fma_f32 v42, v87, v78, -v42
	v_mul_f32_e32 v73, v39, v7
	v_fma_f32 v43, v88, v80, -v43
	v_mul_f32_e32 v77, v36, v5
	v_fmac_f32_e32 v65, v36, v4
	v_mul_f32_e32 v80, v37, v7
	ds_read_b32 v36, v50
	ds_read_b32 v7, v51
	;; [unrolled: 1-line block ×4, first 2 shown]
	s_waitcnt vmcnt(3) lgkmcnt(7)
	v_mul_f32_e32 v81, v76, v13
	v_mul_f32_e32 v13, v74, v13
	v_fma_f32 v64, v89, v82, -v64
	v_fmac_f32_e32 v73, v37, v6
	v_fma_f32 v79, v38, v4, -v77
	v_fma_f32 v77, v39, v6, -v80
	;; [unrolled: 1-line block ×3, first 2 shown]
	s_waitcnt lgkmcnt(6)
	v_mul_f32_e32 v80, v83, v15
	v_mul_f32_e32 v4, v72, v15
	s_waitcnt vmcnt(2) lgkmcnt(5)
	v_mul_f32_e32 v76, v84, v9
	v_mul_f32_e32 v6, v71, v9
	v_fmac_f32_e32 v81, v74, v12
	s_waitcnt lgkmcnt(4)
	v_mul_f32_e32 v74, v44, v11
	v_fmac_f32_e32 v80, v72, v14
	v_fma_f32 v72, v83, v14, -v4
	v_fmac_f32_e32 v76, v71, v8
	v_fma_f32 v71, v84, v8, -v6
	v_mul_f32_e32 v4, v70, v11
	s_waitcnt vmcnt(1) lgkmcnt(3)
	v_mul_f32_e32 v15, v36, v17
	v_mul_f32_e32 v6, v69, v17
	v_fmac_f32_e32 v74, v70, v10
	s_waitcnt lgkmcnt(2)
	v_mul_f32_e32 v13, v7, v19
	v_fma_f32 v70, v44, v10, -v4
	v_fmac_f32_e32 v15, v69, v16
	v_mul_f32_e32 v4, v68, v19
	v_fma_f32 v69, v36, v16, -v6
	v_sub_f32_e32 v6, v82, v77
	v_add_f32_e32 v9, v57, v81
	ds_read_b32 v8, v45
	v_fma_f32 v14, v7, v18, -v4
	v_add_f32_e32 v4, v81, v73
	v_mul_f32_e32 v7, 0xbeb8f4ab, v6
	s_waitcnt vmcnt(0) lgkmcnt(2)
	v_mul_f32_e32 v11, v5, v1
	v_mul_f32_e32 v1, v67, v1
	v_add_f32_e32 v9, v9, v80
	v_sub_f32_e32 v16, v72, v79
	v_fmamk_f32 v10, v4, 0x3f6eb680, v7
	v_fmac_f32_e32 v13, v68, v18
	v_fma_f32 v12, v5, v0, -v1
	v_fmac_f32_e32 v11, v67, v0
	v_add_f32_e32 v17, v80, v65
	v_add_f32_e32 v1, v57, v10
	;; [unrolled: 1-line block ×3, first 2 shown]
	v_mul_f32_e32 v18, 0xbf2c7751, v16
	v_sub_f32_e32 v0, v71, v64
	v_add_f32_e32 v19, v76, v63
	v_sub_f32_e32 v37, v70, v43
	v_add_f32_e32 v10, v10, v74
	v_fmamk_f32 v5, v17, 0x3f3d2fb0, v18
	v_mul_f32_e32 v36, 0xbf65296c, v0
	s_waitcnt lgkmcnt(0)
	v_mul_f32_e32 v9, v8, v3
	v_add_f32_e32 v38, v74, v62
	v_add_f32_e32 v10, v10, v15
	;; [unrolled: 1-line block ×3, first 2 shown]
	v_fmamk_f32 v5, v19, 0x3ee437d1, v36
	v_mul_f32_e32 v39, 0xbf7ee86f, v37
	v_sub_f32_e32 v44, v69, v42
	v_add_f32_e32 v10, v10, v13
	v_fmac_f32_e32 v9, v66, v2
	v_add_f32_e32 v1, v5, v1
	v_fmamk_f32 v5, v38, 0x3dbcf732, v39
	v_add_f32_e32 v67, v15, v61
	v_mul_f32_e32 v68, 0xbf763a35, v44
	v_mul_f32_e32 v3, v66, v3
	v_sub_f32_e32 v66, v14, v41
	v_add_f32_e32 v10, v10, v11
	v_add_f32_e32 v1, v5, v1
	v_fmamk_f32 v5, v67, 0xbe8c1d8e, v68
	v_add_f32_e32 v83, v13, v60
	v_mul_f32_e32 v84, 0xbf4c4adb, v66
	v_add_f32_e32 v85, v10, v9
	v_fma_f32 v10, v8, v2, -v3
	v_sub_f32_e32 v2, v12, v59
	v_add_f32_e32 v1, v5, v1
	v_fmamk_f32 v3, v83, 0xbf1a4643, v84
	v_add_f32_e32 v5, v85, v55
	v_add_f32_e32 v85, v11, v58
	v_mul_f32_e32 v86, 0xbf06c442, v2
	v_sub_f32_e32 v87, v10, v40
	v_cndmask_b32_e64 v8, 0, 0x484, s1
	v_add_f32_e32 v1, v3, v1
	v_add_f32_e32 v88, v9, v55
	v_fmamk_f32 v3, v85, 0xbf59a7d5, v86
	v_mul_f32_e32 v89, 0xbe3c28d5, v87
	v_add_nc_u32_e32 v8, 0, v8
	v_mul_f32_e32 v90, 0xbf2c7751, v6
	v_mul_f32_e32 v95, 0xbf4c4adb, v0
	v_add_f32_e32 v1, v3, v1
	v_fmamk_f32 v3, v88, 0xbf7ba420, v89
	v_add3_u32 v8, v8, v75, v56
	v_mul_f32_e32 v56, 0xbf7ee86f, v16
	v_mul_f32_e32 v91, 0xbf65296c, v6
	;; [unrolled: 1-line block ×3, first 2 shown]
	v_add_f32_e32 v1, v3, v1
	v_fmamk_f32 v3, v4, 0x3f3d2fb0, v90
	v_fmamk_f32 v93, v17, 0x3dbcf732, v56
	v_add_f32_e32 v5, v5, v58
	v_fmamk_f32 v75, v4, 0x3ee437d1, v91
	v_mul_f32_e32 v92, 0xbf4c4adb, v16
	v_add_f32_e32 v3, v57, v3
	v_mul_f32_e32 v99, 0x3f06c442, v44
	v_add_f32_e32 v5, v5, v60
	v_add_f32_e32 v75, v57, v75
	v_fmamk_f32 v94, v17, 0xbf1a4643, v92
	v_add_f32_e32 v3, v93, v3
	v_fmamk_f32 v93, v19, 0xbf1a4643, v95
	v_mul_f32_e32 v96, 0x3e3c28d5, v0
	v_mul_f32_e32 v101, 0x3f763a35, v66
	v_add_f32_e32 v5, v5, v61
	v_add_f32_e32 v75, v94, v75
	v_add_f32_e32 v3, v93, v3
	v_fmamk_f32 v93, v38, 0xbf7ba420, v97
	v_fmamk_f32 v94, v19, 0xbf7ba420, v96
	v_mul_f32_e32 v98, 0x3f763a35, v37
	v_mul_f32_e32 v103, 0x3f65296c, v2
	v_add_f32_e32 v5, v5, v62
	v_add_f32_e32 v3, v93, v3
	v_fmamk_f32 v93, v67, 0xbf59a7d5, v99
	v_add_f32_e32 v75, v94, v75
	v_fmamk_f32 v94, v38, 0xbe8c1d8e, v98
	v_mul_f32_e32 v100, 0x3f2c7751, v44
	v_mul_f32_e32 v107, 0xbf7ee86f, v6
	v_add_f32_e32 v3, v93, v3
	v_fmamk_f32 v93, v83, 0xbe8c1d8e, v101
	v_add_f32_e32 v5, v5, v63
	v_add_f32_e32 v75, v94, v75
	v_fmamk_f32 v94, v67, 0x3f3d2fb0, v100
	v_mul_f32_e32 v102, 0xbeb8f4ab, v66
	v_add_f32_e32 v3, v93, v3
	v_fmamk_f32 v93, v85, 0x3ee437d1, v103
	v_fmamk_f32 v108, v4, 0x3dbcf732, v107
	v_mul_f32_e32 v109, 0xbe3c28d5, v16
	v_add_f32_e32 v5, v5, v65
	v_add_f32_e32 v75, v94, v75
	;; [unrolled: 1-line block ×3, first 2 shown]
	v_mul_f32_e32 v93, 0xbf763a35, v6
	v_fmamk_f32 v94, v83, 0x3f6eb680, v102
	v_mul_f32_e32 v104, 0xbf7ee86f, v2
	v_mul_f32_e32 v112, 0x3f06c442, v16
	v_add_f32_e32 v108, v57, v108
	v_fmamk_f32 v111, v4, 0xbe8c1d8e, v93
	v_fmamk_f32 v113, v17, 0xbf7ba420, v109
	v_mul_f32_e32 v114, 0x3f763a35, v0
	v_add_f32_e32 v5, v5, v73
	v_add_f32_e32 v75, v94, v75
	v_fmamk_f32 v94, v85, 0x3dbcf732, v104
	v_mul_f32_e32 v105, 0x3eb8f4ab, v87
	v_add_f32_e32 v111, v57, v111
	v_fmamk_f32 v115, v17, 0xbf59a7d5, v112
	v_mul_f32_e32 v116, 0x3f2c7751, v0
	;; [unrolled: 3-line block ×3, first 2 shown]
	s_barrier
	v_mul_f32_e32 v106, 0xbf06c442, v87
	buffer_gl0_inv
	v_add_f32_e32 v75, v94, v75
	v_fmamk_f32 v94, v88, 0x3f6eb680, v105
	ds_write2_b32 v8, v5, v1 offset1:17
	v_add_f32_e32 v1, v115, v111
	v_fmamk_f32 v5, v19, 0x3f3d2fb0, v116
	v_add_f32_e32 v108, v113, v108
	v_fmamk_f32 v111, v38, 0x3f6eb680, v117
	v_mul_f32_e32 v113, 0xbf65296c, v37
	v_mul_f32_e32 v115, 0xbf65296c, v44
	v_fmamk_f32 v110, v88, 0xbf59a7d5, v106
	v_add_f32_e32 v3, v94, v3
	v_add_f32_e32 v1, v5, v1
	;; [unrolled: 1-line block ×3, first 2 shown]
	v_fmamk_f32 v94, v38, 0x3ee437d1, v113
	v_fmamk_f32 v108, v67, 0x3ee437d1, v115
	v_mul_f32_e32 v111, 0xbe3c28d5, v44
	v_mul_f32_e32 v118, 0xbf06c442, v66
	v_add_f32_e32 v75, v110, v75
	v_add_f32_e32 v1, v94, v1
	;; [unrolled: 1-line block ×3, first 2 shown]
	v_fmamk_f32 v94, v67, 0xbf7ba420, v111
	v_fmamk_f32 v108, v83, 0xbf59a7d5, v118
	v_mul_f32_e32 v110, 0x3f7ee86f, v66
	v_mul_f32_e32 v119, 0x3f4c4adb, v2
	ds_write2_b32 v8, v3, v75 offset0:34 offset1:51
	v_add_f32_e32 v1, v94, v1
	v_add_f32_e32 v3, v108, v5
	v_fmamk_f32 v5, v83, 0x3dbcf732, v110
	v_fmamk_f32 v75, v85, 0xbf1a4643, v119
	v_mul_f32_e32 v94, 0xbeb8f4ab, v2
	v_mul_f32_e32 v108, 0x3f2c7751, v87
	;; [unrolled: 1-line block ×3, first 2 shown]
	v_add_f32_e32 v1, v5, v1
	v_add_f32_e32 v3, v75, v3
	v_fmamk_f32 v5, v85, 0x3f6eb680, v94
	v_fmamk_f32 v75, v88, 0x3f3d2fb0, v108
	;; [unrolled: 1-line block ×3, first 2 shown]
	v_mul_f32_e32 v122, 0x3f763a35, v16
	v_mul_f32_e32 v123, 0xbf06c442, v6
	v_add_f32_e32 v1, v5, v1
	v_add_f32_e32 v3, v75, v3
	;; [unrolled: 1-line block ×3, first 2 shown]
	v_fmamk_f32 v75, v17, 0xbe8c1d8e, v122
	v_fmamk_f32 v121, v4, 0xbf59a7d5, v123
	v_mul_f32_e32 v124, 0x3f65296c, v16
	v_mul_f32_e32 v125, 0xbeb8f4ab, v0
	;; [unrolled: 1-line block ×3, first 2 shown]
	v_add_f32_e32 v5, v75, v5
	v_add_f32_e32 v75, v57, v121
	v_fmamk_f32 v121, v17, 0x3ee437d1, v124
	v_fmamk_f32 v127, v19, 0x3f6eb680, v125
	v_mul_f32_e32 v128, 0xbf7ee86f, v0
	v_mul_f32_e32 v129, 0xbf06c442, v37
	v_fmamk_f32 v130, v88, 0xbf1a4643, v126
	v_add_f32_e32 v75, v121, v75
	v_add_f32_e32 v5, v127, v5
	v_fmamk_f32 v121, v19, 0x3dbcf732, v128
	v_fmamk_f32 v127, v38, 0xbf59a7d5, v129
	v_mul_f32_e32 v131, 0x3f4c4adb, v37
	v_mul_f32_e32 v132, 0x3f7ee86f, v44
	v_add_f32_e32 v1, v130, v1
	v_add_f32_e32 v75, v121, v75
	;; [unrolled: 1-line block ×3, first 2 shown]
	v_fmamk_f32 v121, v38, 0xbf1a4643, v131
	v_fmamk_f32 v127, v67, 0x3dbcf732, v132
	v_mul_f32_e32 v130, 0xbeb8f4ab, v44
	v_mul_f32_e32 v133, 0xbf2c7751, v66
	ds_write2_b32 v8, v3, v1 offset0:68 offset1:85
	v_add_f32_e32 v1, v121, v75
	v_add_f32_e32 v3, v127, v5
	v_fmamk_f32 v5, v67, 0x3f6eb680, v130
	v_fmamk_f32 v75, v83, 0x3f3d2fb0, v133
	v_mul_f32_e32 v121, 0xbe3c28d5, v66
	v_mul_f32_e32 v127, 0xbe3c28d5, v2
	;; [unrolled: 1-line block ×3, first 2 shown]
	v_add_f32_e32 v1, v5, v1
	v_add_f32_e32 v3, v75, v3
	v_fmamk_f32 v5, v83, 0xbf7ba420, v121
	v_fmamk_f32 v75, v85, 0xbf7ba420, v127
	v_mul_f32_e32 v6, 0xbe3c28d5, v6
	v_mul_f32_e32 v16, 0x3eb8f4ab, v16
	;; [unrolled: 1-line block ×3, first 2 shown]
	v_add_f32_e32 v1, v5, v1
	v_add_f32_e32 v3, v75, v3
	v_fmamk_f32 v5, v85, 0x3f3d2fb0, v134
	v_mul_f32_e32 v75, 0x3f65296c, v87
	v_fmamk_f32 v135, v17, 0x3f6eb680, v16
	v_fma_f32 v16, 0x3f6eb680, v17, -v16
	v_mul_f32_e32 v37, 0x3f2c7751, v37
	v_add_f32_e32 v1, v5, v1
	v_fmamk_f32 v5, v88, 0x3ee437d1, v75
	v_mul_f32_e32 v44, 0xbf4c4adb, v44
	v_mul_f32_e32 v66, 0x3f65296c, v66
	;; [unrolled: 1-line block ×3, first 2 shown]
	v_fma_f32 v56, 0x3dbcf732, v17, -v56
	v_add_f32_e32 v3, v5, v3
	v_fmamk_f32 v5, v4, 0xbf7ba420, v6
	v_fma_f32 v6, 0xbf7ba420, v4, -v6
	v_add_f32_e32 v5, v57, v5
	v_add_f32_e32 v6, v57, v6
	;; [unrolled: 1-line block ×4, first 2 shown]
	v_fmamk_f32 v16, v19, 0xbf59a7d5, v0
	v_fma_f32 v0, 0xbf59a7d5, v19, -v0
	v_add_f32_e32 v5, v16, v5
	v_fmamk_f32 v16, v38, 0x3f3d2fb0, v37
	v_add_f32_e32 v0, v0, v6
	v_mul_f32_e32 v6, 0xbf763a35, v87
	v_fma_f32 v37, 0x3f3d2fb0, v38, -v37
	v_add_f32_e32 v5, v16, v5
	v_fmamk_f32 v16, v67, 0xbf1a4643, v44
	v_add_f32_e32 v0, v37, v0
	v_fmamk_f32 v37, v88, 0xbe8c1d8e, v6
	v_fma_f32 v6, 0xbe8c1d8e, v88, -v6
	v_add_f32_e32 v5, v16, v5
	v_fma_f32 v16, 0xbf1a4643, v67, -v44
	v_fmamk_f32 v44, v83, 0x3ee437d1, v66
	v_add_f32_e32 v1, v37, v1
	v_fmamk_f32 v37, v85, 0xbe8c1d8e, v2
	v_fma_f32 v2, 0xbe8c1d8e, v85, -v2
	v_add_f32_e32 v0, v16, v0
	v_add_f32_e32 v5, v44, v5
	v_fma_f32 v16, 0x3ee437d1, v83, -v66
	v_fma_f32 v44, 0xbf1a4643, v4, -v120
	ds_write2_b32 v8, v3, v1 offset0:102 offset1:119
	v_fma_f32 v1, 0xbf59a7d5, v4, -v123
	v_add_f32_e32 v3, v37, v5
	v_add_f32_e32 v0, v16, v0
	;; [unrolled: 1-line block ×3, first 2 shown]
	v_fma_f32 v16, 0xbe8c1d8e, v17, -v122
	v_add_f32_e32 v1, v57, v1
	v_fma_f32 v37, 0x3ee437d1, v17, -v124
	v_mul_f32_e32 v44, 0x3f7ee86f, v87
	v_add_f32_e32 v0, v2, v0
	v_add_f32_e32 v5, v16, v5
	v_fma_f32 v16, 0x3f6eb680, v19, -v125
	v_add_f32_e32 v1, v37, v1
	v_fma_f32 v37, 0x3dbcf732, v19, -v128
	v_fmamk_f32 v2, v88, 0x3dbcf732, v44
	v_fma_f32 v66, 0xbf59a7d5, v17, -v112
	v_add_f32_e32 v5, v16, v5
	v_fma_f32 v16, 0xbf59a7d5, v38, -v129
	v_add_f32_e32 v1, v37, v1
	;; [unrolled: 2-line block ×11, first 2 shown]
	v_add_f32_e32 v3, v44, v3
	v_fma_f32 v44, 0xbe8c1d8e, v19, -v114
	v_add_f32_e32 v1, v16, v1
	v_fma_f32 v16, 0xbf7ba420, v85, -v127
	v_add_f32_e32 v37, v66, v37
	v_fma_f32 v66, 0x3f3d2fb0, v19, -v116
	v_add_f32_e32 v3, v44, v3
	v_fma_f32 v44, 0x3f6eb680, v38, -v117
	v_add_f32_e32 v5, v16, v5
	v_fma_f32 v16, 0x3f3d2fb0, v85, -v134
	v_add_f32_e32 v37, v66, v37
	v_fma_f32 v66, 0x3ee437d1, v38, -v113
	v_add_f32_e32 v3, v44, v3
	v_fma_f32 v44, 0x3ee437d1, v67, -v115
	v_add_f32_e32 v1, v16, v1
	v_fma_f32 v16, 0x3ee437d1, v88, -v75
	v_add_f32_e32 v37, v66, v37
	v_fma_f32 v66, 0xbf7ba420, v67, -v111
	v_add_f32_e32 v3, v44, v3
	v_fma_f32 v44, 0xbf59a7d5, v83, -v118
	v_add_f32_e32 v5, v16, v5
	v_add_f32_e32 v1, v6, v1
	;; [unrolled: 1-line block ×3, first 2 shown]
	v_fma_f32 v37, 0x3dbcf732, v83, -v110
	v_add_f32_e32 v3, v44, v3
	v_fma_f32 v44, 0xbf1a4643, v85, -v119
	v_fma_f32 v6, 0x3f3d2fb0, v4, -v90
	v_add_f32_e32 v16, v37, v16
	v_fma_f32 v37, 0x3f6eb680, v85, -v94
	v_add_f32_e32 v3, v44, v3
	v_fma_f32 v44, 0x3ee437d1, v4, -v91
	v_fma_f32 v4, 0x3f6eb680, v4, -v7
	v_add_f32_e32 v6, v57, v6
	v_add_f32_e32 v16, v37, v16
	v_fma_f32 v37, 0xbf1a4643, v17, -v92
	v_add_f32_e32 v7, v57, v44
	v_add_f32_e32 v4, v57, v4
	v_fma_f32 v17, 0x3f3d2fb0, v17, -v18
	v_add_f32_e32 v6, v56, v6
	v_fma_f32 v44, 0xbf1a4643, v19, -v95
	v_add_f32_e32 v7, v37, v7
	v_fma_f32 v18, 0xbf7ba420, v19, -v96
	v_add_f32_e32 v4, v17, v4
	v_fma_f32 v17, 0x3ee437d1, v19, -v36
	v_add_f32_e32 v6, v44, v6
	v_fma_f32 v37, 0xbf7ba420, v38, -v97
	v_add_f32_e32 v7, v18, v7
	v_fma_f32 v18, 0xbe8c1d8e, v38, -v98
	v_add_f32_e32 v4, v17, v4
	v_fma_f32 v17, 0x3dbcf732, v38, -v39
	v_add_f32_e32 v6, v37, v6
	v_fma_f32 v19, 0xbf59a7d5, v67, -v99
	v_add_f32_e32 v7, v18, v7
	v_fma_f32 v18, 0x3f3d2fb0, v67, -v100
	v_add_f32_e32 v4, v17, v4
	v_fma_f32 v17, 0xbe8c1d8e, v67, -v68
	v_add_f32_e32 v6, v19, v6
	v_fma_f32 v19, 0xbe8c1d8e, v83, -v101
	v_add_f32_e32 v7, v18, v7
	v_fma_f32 v18, 0x3f6eb680, v83, -v102
	v_add_f32_e32 v4, v17, v4
	v_fma_f32 v17, 0xbf1a4643, v83, -v84
	v_add_f32_e32 v6, v19, v6
	v_fma_f32 v19, 0x3dbcf732, v85, -v104
	v_add_f32_e32 v7, v18, v7
	v_fma_f32 v18, 0x3ee437d1, v85, -v103
	v_add_f32_e32 v4, v17, v4
	v_fma_f32 v17, 0xbf59a7d5, v85, -v86
	v_fma_f32 v36, 0x3f3d2fb0, v88, -v108
	v_fma_f32 v37, 0xbf1a4643, v88, -v126
	v_add_f32_e32 v6, v18, v6
	v_add_f32_e32 v7, v19, v7
	v_fma_f32 v18, 0x3f6eb680, v88, -v105
	v_fma_f32 v19, 0xbf59a7d5, v88, -v106
	v_add_f32_e32 v4, v17, v4
	v_fma_f32 v17, 0xbf7ba420, v88, -v89
	v_add_f32_e32 v3, v36, v3
	v_add_f32_e32 v36, v37, v16
	;; [unrolled: 1-line block ×5, first 2 shown]
	ds_write2_b32 v8, v2, v0 offset0:136 offset1:153
	ds_write2_b32 v8, v1, v5 offset0:170 offset1:187
	;; [unrolled: 1-line block ×4, first 2 shown]
	ds_write_b32 v8, v16 offset:1088
	s_waitcnt lgkmcnt(0)
	s_barrier
	buffer_gl0_inv
	ds_read_b32 v19, v32
	ds_read_b32 v36, v46
	;; [unrolled: 1-line block ×8, first 2 shown]
	ds_read2_b32 v[0:1], v53 offset0:33 offset1:67
	ds_read2_b32 v[2:3], v53 offset0:101 offset1:135
	;; [unrolled: 1-line block ×4, first 2 shown]
                                        ; implicit-def: $vgpr17
	s_and_saveexec_b32 s1, s0
	s_cbranch_execz .LBB0_14
; %bb.13:
	ds_read_b32 v16, v45
	ds_read_b32 v17, v34 offset:2244
.LBB0_14:
	s_or_b32 exec_lo, exec_lo, s1
	v_add_f32_e32 v57, v78, v82
	v_add_f32_e32 v66, v82, v77
	v_sub_f32_e32 v67, v81, v73
	v_add_f32_e32 v68, v72, v79
	v_sub_f32_e32 v65, v80, v65
	v_add_f32_e32 v57, v57, v72
	v_mul_f32_e32 v72, 0x3f6eb680, v66
	v_mul_f32_e32 v73, 0x3f3d2fb0, v66
	;; [unrolled: 1-line block ×4, first 2 shown]
	v_add_f32_e32 v57, v57, v71
	v_mul_f32_e32 v81, 0xbe8c1d8e, v66
	v_mul_f32_e32 v82, 0xbf1a4643, v66
	;; [unrolled: 1-line block ×4, first 2 shown]
	v_add_f32_e32 v57, v57, v70
	v_mul_f32_e32 v84, 0x3f3d2fb0, v68
	v_fmamk_f32 v89, v67, 0x3eb8f4ab, v72
	v_fmac_f32_e32 v72, 0xbeb8f4ab, v67
	v_mul_f32_e32 v86, 0xbf1a4643, v68
	v_add_f32_e32 v57, v57, v69
	v_mul_f32_e32 v87, 0xbf7ba420, v68
	v_fmamk_f32 v90, v67, 0x3f2c7751, v73
	v_fmac_f32_e32 v73, 0xbf2c7751, v67
	v_fmamk_f32 v91, v67, 0x3f65296c, v75
	v_add_f32_e32 v57, v57, v14
	v_fmac_f32_e32 v75, 0xbf65296c, v67
	v_fmamk_f32 v92, v67, 0x3f7ee86f, v80
	v_fmac_f32_e32 v80, 0xbf7ee86f, v67
	v_fmamk_f32 v93, v67, 0x3f763a35, v81
	v_add_f32_e32 v57, v57, v12
	v_fmac_f32_e32 v81, 0xbf763a35, v67
	;; [unrolled: 5-line block ×4, first 2 shown]
	v_add_f32_e32 v72, v78, v72
	v_fmamk_f32 v98, v65, 0x3f4c4adb, v86
	v_fmac_f32_e32 v86, 0xbf4c4adb, v65
	v_add_f32_e32 v57, v57, v59
	v_add_f32_e32 v75, v78, v75
	;; [unrolled: 1-line block ×4, first 2 shown]
	v_mul_f32_e32 v84, 0xbe8c1d8e, v68
	v_add_f32_e32 v57, v57, v41
	v_mul_f32_e32 v85, 0x3dbcf732, v68
	v_mul_f32_e32 v88, 0xbf59a7d5, v68
	v_add_f32_e32 v82, v78, v82
	v_add_f32_e32 v75, v86, v75
	;; [unrolled: 1-line block ×3, first 2 shown]
	v_fmamk_f32 v86, v65, 0xbf763a35, v84
	v_fmac_f32_e32 v84, 0x3f763a35, v65
	v_fmamk_f32 v97, v65, 0x3f7ee86f, v85
	v_fmac_f32_e32 v85, 0xbf7ee86f, v65
	v_add_f32_e32 v57, v57, v43
	v_add_f32_e32 v89, v78, v89
	;; [unrolled: 1-line block ×9, first 2 shown]
	v_sub_f32_e32 v63, v76, v63
	v_add_f32_e32 v57, v57, v79
	v_mul_f32_e32 v76, 0x3ee437d1, v64
	v_add_f32_e32 v90, v78, v90
	v_add_f32_e32 v91, v78, v91
	;; [unrolled: 1-line block ×4, first 2 shown]
	v_fmamk_f32 v77, v65, 0x3e3c28d5, v87
	v_fmac_f32_e32 v87, 0xbe3c28d5, v65
	v_add_f32_e32 v67, v67, v89
	v_add_f32_e32 v73, v85, v73
	v_fmamk_f32 v85, v65, 0xbf06c442, v88
	v_fmac_f32_e32 v88, 0x3f06c442, v65
	v_add_f32_e32 v80, v87, v80
	v_mul_f32_e32 v87, 0x3ee437d1, v68
	v_mul_f32_e32 v68, 0x3f6eb680, v68
	v_add_f32_e32 v92, v78, v92
	v_add_f32_e32 v93, v78, v93
	;; [unrolled: 1-line block ×3, first 2 shown]
	v_fmamk_f32 v71, v65, 0xbf65296c, v87
	v_fmac_f32_e32 v87, 0x3f65296c, v65
	v_fmamk_f32 v84, v65, 0xbeb8f4ab, v68
	v_fmac_f32_e32 v68, 0x3eb8f4ab, v65
	v_add_f32_e32 v95, v78, v95
	v_add_f32_e32 v78, v97, v90
	;; [unrolled: 1-line block ×4, first 2 shown]
	v_fmamk_f32 v84, v63, 0x3f65296c, v76
	v_mul_f32_e32 v87, 0xbf1a4643, v64
	v_add_f32_e32 v66, v68, v66
	v_fmac_f32_e32 v76, 0xbf65296c, v63
	v_mul_f32_e32 v68, 0xbf7ba420, v64
	v_add_f32_e32 v79, v98, v91
	v_add_f32_e32 v81, v88, v81
	;; [unrolled: 1-line block ×3, first 2 shown]
	v_fmamk_f32 v84, v63, 0x3f4c4adb, v87
	v_add_f32_e32 v72, v76, v72
	v_fmamk_f32 v76, v63, 0xbe3c28d5, v68
	v_mul_f32_e32 v88, 0xbe8c1d8e, v64
	v_add_f32_e32 v77, v77, v92
	v_add_f32_e32 v78, v84, v78
	v_mul_f32_e32 v84, 0x3f3d2fb0, v64
	v_add_f32_e32 v76, v76, v79
	v_fmamk_f32 v79, v63, 0xbf763a35, v88
	v_fmac_f32_e32 v88, 0x3f763a35, v63
	v_add_f32_e32 v85, v85, v93
	v_fmac_f32_e32 v68, 0x3e3c28d5, v63
	v_add_f32_e32 v71, v71, v95
	v_add_f32_e32 v77, v79, v77
	v_fmamk_f32 v79, v63, 0xbf2c7751, v84
	v_add_f32_e32 v80, v88, v80
	v_mul_f32_e32 v88, 0x3dbcf732, v64
	v_fmac_f32_e32 v87, 0xbf4c4adb, v63
	v_add_f32_e32 v68, v68, v75
	v_mul_f32_e32 v75, 0x3f6eb680, v64
	v_add_f32_e32 v79, v79, v85
	v_fmamk_f32 v85, v63, 0x3f7ee86f, v88
	v_mul_f32_e32 v64, 0xbf59a7d5, v64
	v_add_f32_e32 v43, v70, v43
	v_add_f32_e32 v73, v87, v73
	v_fmamk_f32 v87, v63, 0x3eb8f4ab, v75
	v_fmac_f32_e32 v75, 0xbeb8f4ab, v63
	v_add_f32_e32 v70, v85, v71
	v_fmamk_f32 v71, v63, 0x3f06c442, v64
	v_sub_f32_e32 v62, v74, v62
	v_mul_f32_e32 v74, 0x3dbcf732, v43
	v_fmac_f32_e32 v64, 0xbf06c442, v63
	v_fmac_f32_e32 v84, 0x3f2c7751, v63
	v_add_f32_e32 v75, v75, v82
	v_fmac_f32_e32 v88, 0xbf7ee86f, v63
	v_add_f32_e32 v63, v71, v83
	v_mul_f32_e32 v71, 0xbf7ba420, v43
	v_fmamk_f32 v82, v62, 0x3f7ee86f, v74
	v_fmac_f32_e32 v74, 0xbf7ee86f, v62
	v_add_f32_e32 v64, v64, v66
	v_mul_f32_e32 v66, 0xbe8c1d8e, v43
	v_fmamk_f32 v83, v62, 0x3e3c28d5, v71
	v_fmac_f32_e32 v71, 0xbe3c28d5, v62
	v_add_f32_e32 v72, v74, v72
	v_add_f32_e32 v67, v82, v67
	v_fmamk_f32 v74, v62, 0xbf763a35, v66
	v_mul_f32_e32 v82, 0x3f6eb680, v43
	v_fmac_f32_e32 v66, 0x3f763a35, v62
	v_add_f32_e32 v71, v71, v73
	v_add_f32_e32 v81, v84, v81
	;; [unrolled: 1-line block ×3, first 2 shown]
	v_mul_f32_e32 v74, 0x3ee437d1, v43
	v_add_f32_e32 v78, v83, v78
	v_fmamk_f32 v76, v62, 0xbeb8f4ab, v82
	v_add_f32_e32 v66, v66, v68
	v_fmac_f32_e32 v82, 0x3eb8f4ab, v62
	v_mul_f32_e32 v68, 0xbf59a7d5, v43
	v_fmamk_f32 v83, v62, 0x3f65296c, v74
	v_fmac_f32_e32 v74, 0xbf65296c, v62
	v_add_f32_e32 v76, v76, v77
	v_add_f32_e32 v77, v82, v80
	v_fmamk_f32 v80, v62, 0x3f06c442, v68
	v_fmac_f32_e32 v68, 0xbf06c442, v62
	v_add_f32_e32 v74, v74, v81
	v_mul_f32_e32 v81, 0xbf1a4643, v43
	v_mul_f32_e32 v43, 0x3f3d2fb0, v43
	v_add_f32_e32 v42, v69, v42
	v_add_f32_e32 v65, v88, v65
	v_add_f32_e32 v68, v68, v75
	v_fmamk_f32 v69, v62, 0xbf4c4adb, v81
	v_fmac_f32_e32 v81, 0x3f4c4adb, v62
	v_fmamk_f32 v75, v62, 0xbf2c7751, v43
	v_sub_f32_e32 v15, v15, v61
	v_mul_f32_e32 v61, 0xbe8c1d8e, v42
	v_fmac_f32_e32 v43, 0x3f2c7751, v62
	v_add_f32_e32 v69, v69, v70
	v_add_f32_e32 v62, v81, v65
	v_mul_f32_e32 v70, 0xbf59a7d5, v42
	v_fmamk_f32 v65, v15, 0x3f763a35, v61
	v_add_f32_e32 v43, v43, v64
	v_fmac_f32_e32 v61, 0xbf763a35, v15
	v_mul_f32_e32 v64, 0x3f3d2fb0, v42
	v_add_f32_e32 v63, v75, v63
	v_add_f32_e32 v65, v65, v67
	v_fmamk_f32 v67, v15, 0xbf06c442, v70
	v_fmac_f32_e32 v70, 0x3f06c442, v15
	v_add_f32_e32 v61, v61, v72
	v_fmamk_f32 v72, v15, 0xbf2c7751, v64
	v_mul_f32_e32 v75, 0x3ee437d1, v42
	v_fmac_f32_e32 v64, 0x3f2c7751, v15
	v_add_f32_e32 v86, v86, v94
	v_add_f32_e32 v70, v70, v71
	;; [unrolled: 1-line block ×3, first 2 shown]
	v_fmamk_f32 v72, v15, 0x3f65296c, v75
	v_fmac_f32_e32 v75, 0xbf65296c, v15
	v_add_f32_e32 v64, v64, v66
	v_mul_f32_e32 v66, 0x3dbcf732, v42
	v_add_f32_e32 v84, v87, v86
	v_add_f32_e32 v67, v67, v78
	v_mul_f32_e32 v73, 0xbf7ba420, v42
	v_add_f32_e32 v75, v75, v77
	v_fmamk_f32 v77, v15, 0xbf7ee86f, v66
	v_mul_f32_e32 v78, 0x3f6eb680, v42
	v_fmac_f32_e32 v66, 0x3f7ee86f, v15
	v_mul_f32_e32 v42, 0xbf1a4643, v42
	v_add_f32_e32 v80, v80, v84
	v_add_f32_e32 v72, v72, v76
	v_fmamk_f32 v76, v15, 0x3e3c28d5, v73
	v_fmac_f32_e32 v73, 0xbe3c28d5, v15
	v_add_f32_e32 v66, v66, v68
	v_add_f32_e32 v14, v14, v41
	v_fmamk_f32 v68, v15, 0x3f4c4adb, v42
	v_sub_f32_e32 v13, v13, v60
	v_add_f32_e32 v73, v73, v74
	v_add_f32_e32 v74, v77, v80
	v_fmamk_f32 v77, v15, 0x3eb8f4ab, v78
	v_fmac_f32_e32 v78, 0xbeb8f4ab, v15
	v_mul_f32_e32 v60, 0xbf1a4643, v14
	v_fmac_f32_e32 v42, 0xbf4c4adb, v15
	v_add_f32_e32 v15, v68, v63
	v_mul_f32_e32 v63, 0xbe8c1d8e, v14
	v_add_f32_e32 v41, v77, v69
	v_fmamk_f32 v68, v13, 0x3f4c4adb, v60
	v_fmac_f32_e32 v60, 0xbf4c4adb, v13
	v_add_f32_e32 v42, v42, v43
	v_mul_f32_e32 v43, 0x3f6eb680, v14
	v_fmamk_f32 v69, v13, 0xbf763a35, v63
	v_add_f32_e32 v65, v68, v65
	v_add_f32_e32 v60, v60, v61
	v_fmac_f32_e32 v63, 0x3f763a35, v13
	v_fmamk_f32 v61, v13, 0x3eb8f4ab, v43
	v_add_f32_e32 v67, v69, v67
	v_mul_f32_e32 v68, 0xbf59a7d5, v14
	v_fmac_f32_e32 v43, 0xbeb8f4ab, v13
	v_mul_f32_e32 v69, 0x3dbcf732, v14
	v_add_f32_e32 v63, v63, v70
	v_add_f32_e32 v61, v61, v71
	v_fmamk_f32 v70, v13, 0x3f06c442, v68
	v_add_f32_e32 v43, v43, v64
	v_mul_f32_e32 v64, 0x3f3d2fb0, v14
	v_fmamk_f32 v71, v13, 0xbf7ee86f, v69
	v_fmac_f32_e32 v69, 0x3f7ee86f, v13
	v_add_f32_e32 v70, v70, v72
	v_add_f32_e32 v12, v12, v59
	v_fmamk_f32 v72, v13, 0x3f2c7751, v64
	v_fmac_f32_e32 v64, 0xbf2c7751, v13
	v_add_f32_e32 v69, v69, v73
	v_mul_f32_e32 v73, 0xbf7ba420, v14
	v_mul_f32_e32 v14, 0x3ee437d1, v14
	v_sub_f32_e32 v11, v11, v58
	v_add_f32_e32 v64, v64, v66
	v_mul_f32_e32 v58, 0xbf59a7d5, v12
	v_fmamk_f32 v59, v13, 0x3e3c28d5, v73
	v_fmamk_f32 v66, v13, 0xbf65296c, v14
	v_fmac_f32_e32 v14, 0x3f65296c, v13
	v_add_f32_e32 v62, v78, v62
	v_fmac_f32_e32 v73, 0xbe3c28d5, v13
	v_add_f32_e32 v41, v59, v41
	v_fmamk_f32 v59, v11, 0x3f06c442, v58
	v_add_f32_e32 v14, v14, v42
	v_fmac_f32_e32 v58, 0xbf06c442, v11
	v_mul_f32_e32 v42, 0x3dbcf732, v12
	v_fmac_f32_e32 v68, 0xbf06c442, v13
	v_add_f32_e32 v13, v73, v62
	v_add_f32_e32 v15, v66, v15
	v_mul_f32_e32 v62, 0x3ee437d1, v12
	v_add_f32_e32 v58, v58, v60
	v_fmamk_f32 v60, v11, 0x3f7ee86f, v42
	v_mul_f32_e32 v66, 0xbf1a4643, v12
	v_add_f32_e32 v59, v59, v65
	v_fmamk_f32 v65, v11, 0xbf65296c, v62
	v_fmac_f32_e32 v62, 0x3f65296c, v11
	v_fmac_f32_e32 v42, 0xbf7ee86f, v11
	v_add_f32_e32 v60, v60, v61
	v_fmamk_f32 v61, v11, 0xbf4c4adb, v66
	v_add_f32_e32 v68, v68, v75
	v_add_f32_e32 v62, v62, v63
	v_mul_f32_e32 v63, 0x3f6eb680, v12
	v_add_f32_e32 v42, v42, v43
	v_mul_f32_e32 v43, 0xbf7ba420, v12
	;; [unrolled: 2-line block ×3, first 2 shown]
	v_mul_f32_e32 v12, 0xbe8c1d8e, v12
	v_add_f32_e32 v65, v65, v67
	v_fmac_f32_e32 v66, 0x3f4c4adb, v11
	v_fmamk_f32 v67, v11, 0x3eb8f4ab, v63
	v_fmac_f32_e32 v63, 0xbeb8f4ab, v11
	v_add_f32_e32 v10, v10, v40
	v_fmamk_f32 v40, v11, 0x3f763a35, v12
	v_add_f32_e32 v66, v66, v68
	v_fmamk_f32 v68, v11, 0x3e3c28d5, v43
	v_fmac_f32_e32 v43, 0xbe3c28d5, v11
	v_add_f32_e32 v63, v63, v69
	v_fmamk_f32 v69, v11, 0xbf2c7751, v70
	v_fmac_f32_e32 v70, 0x3f2c7751, v11
	v_sub_f32_e32 v9, v9, v55
	v_mul_f32_e32 v55, 0xbf7ba420, v10
	v_fmac_f32_e32 v12, 0xbf763a35, v11
	v_add_f32_e32 v11, v40, v15
	v_mul_f32_e32 v15, 0x3f6eb680, v10
	v_add_f32_e32 v43, v43, v64
	v_fmamk_f32 v40, v9, 0x3e3c28d5, v55
	v_fmac_f32_e32 v55, 0xbe3c28d5, v9
	v_add_f32_e32 v12, v12, v14
	v_mul_f32_e32 v14, 0xbf59a7d5, v10
	v_fmamk_f32 v64, v9, 0xbeb8f4ab, v15
	v_add_f32_e32 v79, v83, v79
	v_add_f32_e32 v59, v40, v59
	;; [unrolled: 1-line block ×3, first 2 shown]
	v_fmac_f32_e32 v15, 0x3eb8f4ab, v9
	v_fmamk_f32 v55, v9, 0x3f06c442, v14
	v_add_f32_e32 v58, v64, v65
	v_mul_f32_e32 v64, 0x3f3d2fb0, v10
	v_fmac_f32_e32 v14, 0xbf06c442, v9
	v_add_f32_e32 v76, v76, v79
	v_add_f32_e32 v72, v72, v74
	;; [unrolled: 1-line block ×4, first 2 shown]
	v_mul_f32_e32 v60, 0xbf1a4643, v10
	v_fmamk_f32 v62, v9, 0xbf2c7751, v64
	v_add_f32_e32 v14, v14, v42
	v_fmac_f32_e32 v64, 0x3f2c7751, v9
	v_mul_f32_e32 v42, 0x3ee437d1, v10
	v_add_f32_e32 v71, v71, v76
	v_add_f32_e32 v68, v68, v72
	v_fmamk_f32 v65, v9, 0x3f4c4adb, v60
	v_add_f32_e32 v61, v62, v61
	v_fmac_f32_e32 v60, 0xbf4c4adb, v9
	v_add_f32_e32 v62, v64, v66
	v_fmamk_f32 v64, v9, 0xbf65296c, v42
	v_mul_f32_e32 v66, 0xbe8c1d8e, v10
	v_add_f32_e32 v67, v67, v71
	v_mul_f32_e32 v10, 0x3dbcf732, v10
	v_add_f32_e32 v41, v69, v41
	v_add_f32_e32 v60, v60, v63
	;; [unrolled: 1-line block ×3, first 2 shown]
	v_fmamk_f32 v64, v9, 0x3f763a35, v66
	v_add_f32_e32 v13, v70, v13
	v_add_f32_e32 v65, v65, v67
	v_fmac_f32_e32 v42, 0x3f65296c, v9
	v_fmac_f32_e32 v66, 0xbf763a35, v9
	v_fmamk_f32 v67, v9, 0xbf7ee86f, v10
	v_fmac_f32_e32 v10, 0x3f7ee86f, v9
	v_add_f32_e32 v41, v64, v41
	v_add_f32_e32 v9, v42, v43
	;; [unrolled: 1-line block ×5, first 2 shown]
	s_waitcnt lgkmcnt(0)
	s_barrier
	buffer_gl0_inv
	ds_write2_b32 v8, v57, v59 offset1:17
	ds_write2_b32 v8, v58, v55 offset0:34 offset1:51
	ds_write2_b32 v8, v61, v65 offset0:68 offset1:85
	;; [unrolled: 1-line block ×7, first 2 shown]
	ds_write_b32 v8, v40 offset:1088
	s_waitcnt lgkmcnt(0)
	s_barrier
	buffer_gl0_inv
	ds_read2_b32 v[8:9], v53 offset0:33 offset1:67
	ds_read2_b32 v[10:11], v53 offset0:101 offset1:135
	ds_read2_b32 v[12:13], v53 offset0:169 offset1:203
	ds_read2_b32 v[14:15], v54 offset0:109 offset1:143
	ds_read_b32 v53, v32
	ds_read_b32 v43, v46
	;; [unrolled: 1-line block ×8, first 2 shown]
                                        ; implicit-def: $vgpr41
	s_and_saveexec_b32 s1, s0
	s_cbranch_execz .LBB0_16
; %bb.15:
	ds_read_b32 v40, v45
	ds_read_b32 v41, v34 offset:2244
	v_mov_b32_e32 v35, v22
.LBB0_16:
	s_or_b32 exec_lo, exec_lo, s1
	s_and_saveexec_b32 s0, vcc_lo
	s_cbranch_execz .LBB0_19
; %bb.17:
	v_mov_b32_e32 v22, 0
	v_add_nc_u32_e32 v63, 0x44, v20
	v_add_nc_u32_e32 v64, 0x66, v20
	;; [unrolled: 1-line block ×4, first 2 shown]
	v_mov_b32_e32 v34, v22
	v_lshlrev_b64 v[51:52], 3, v[21:22]
	v_mov_b32_e32 v32, v22
	v_add_nc_u32_e32 v67, 0xcc, v20
	v_add_nc_u32_e32 v68, 0xee, v20
	v_lshlrev_b64 v[33:34], 3, v[33:34]
	v_mul_hi_u32 v70, 0xe2c4a689, v63
	v_add_co_u32 v21, vcc_lo, s8, v51
	v_lshlrev_b64 v[54:55], 3, v[31:32]
	v_add_co_ci_u32_e32 v31, vcc_lo, s9, v52, vcc_lo
	v_add_co_u32 v45, vcc_lo, s8, v33
	v_add_co_ci_u32_e32 v34, vcc_lo, s9, v34, vcc_lo
	v_add_co_u32 v32, vcc_lo, 0x800, v21
	;; [unrolled: 2-line block ×3, first 2 shown]
	v_mov_b32_e32 v31, v22
	v_add_co_ci_u32_e32 v52, vcc_lo, 0, v34, vcc_lo
	v_add_co_u32 v21, vcc_lo, s8, v54
	v_add_co_ci_u32_e32 v34, vcc_lo, s9, v55, vcc_lo
	v_lshlrev_b64 v[54:55], 3, v[30:31]
	v_add_co_u32 v57, vcc_lo, 0x800, v21
	v_mov_b32_e32 v30, v22
	v_add_co_ci_u32_e32 v58, vcc_lo, 0, v34, vcc_lo
	v_add_co_u32 v21, vcc_lo, s8, v54
	v_add_co_ci_u32_e32 v31, vcc_lo, s9, v55, vcc_lo
	v_lshlrev_b64 v[29:30], 3, v[29:30]
	v_add_co_u32 v54, vcc_lo, 0x800, v21
	v_add_co_ci_u32_e32 v55, vcc_lo, 0, v31, vcc_lo
	v_add_nc_u32_e32 v45, 34, v20
	v_add_co_u32 v21, vcc_lo, s8, v29
	v_add_co_ci_u32_e32 v31, vcc_lo, s9, v30, vcc_lo
	v_mov_b32_e32 v29, v22
	v_add_co_u32 v30, vcc_lo, 0x800, v21
	v_add_co_ci_u32_e32 v31, vcc_lo, 0, v31, vcc_lo
	v_lshlrev_b64 v[59:60], 3, v[28:29]
	s_clause 0x4
	global_load_dwordx2 v[32:33], v[32:33], off offset:128
	global_load_dwordx2 v[51:52], v[51:52], off offset:128
	;; [unrolled: 1-line block ×5, first 2 shown]
	v_mov_b32_e32 v28, v22
	v_mov_b32_e32 v21, v22
	v_mul_hi_u32 v69, 0xe2c4a689, v45
	v_mul_hi_u32 v71, 0xe2c4a689, v64
	v_add_co_u32 v31, vcc_lo, s8, v59
	v_add_co_ci_u32_e32 v34, vcc_lo, s9, v60, vcc_lo
	v_lshlrev_b64 v[27:28], 3, v[27:28]
	v_add_co_u32 v59, vcc_lo, 0x800, v31
	v_lshlrev_b64 v[61:62], 3, v[20:21]
	v_add_co_ci_u32_e32 v60, vcc_lo, 0, v34, vcc_lo
	v_add_co_u32 v21, vcc_lo, s8, v27
	v_add_co_ci_u32_e32 v28, vcc_lo, s9, v28, vcc_lo
	v_add_co_u32 v31, vcc_lo, s8, v61
	;; [unrolled: 2-line block ×4, first 2 shown]
	v_add_co_ci_u32_e32 v62, vcc_lo, 0, v34, vcc_lo
	s_clause 0x2
	global_load_dwordx2 v[59:60], v[59:60], off offset:128
	global_load_dwordx2 v[27:28], v[27:28], off offset:128
	;; [unrolled: 1-line block ×3, first 2 shown]
	v_mul_hi_u32 v34, 0xe2c4a689, v20
	v_mul_lo_u32 v21, s5, v25
	v_mul_lo_u32 v31, s4, v26
	v_mad_u64_u32 v[25:26], null, s4, v25, 0
	v_mul_hi_u32 v72, 0xe2c4a689, v65
	v_mul_hi_u32 v73, 0xe2c4a689, v68
	v_lshrrev_b32_e32 v69, 8, v69
	v_lshrrev_b32_e32 v34, 8, v34
	;; [unrolled: 1-line block ×4, first 2 shown]
	v_add3_u32 v26, v26, v31, v21
	v_mul_hi_u32 v21, 0xe2c4a689, v66
	v_mul_u32_u24_e32 v34, 0x121, v34
	v_mul_hi_u32 v31, 0xe2c4a689, v67
	v_lshrrev_b32_e32 v72, 8, v72
	v_lshlrev_b64 v[25:26], 3, v[25:26]
	v_lshrrev_b32_e32 v73, 8, v73
	v_sub_nc_u32_e32 v34, v20, v34
	v_mul_u32_u24_e32 v75, 0x121, v70
	v_lshrrev_b32_e32 v74, 8, v21
	v_mul_u32_u24_e32 v21, 0x121, v69
	v_add_co_u32 v81, vcc_lo, s14, v25
	v_lshrrev_b32_e32 v31, 8, v31
	v_lshlrev_b64 v[23:24], 3, v[23:24]
	v_mul_u32_u24_e32 v76, 0x121, v71
	v_add_co_ci_u32_e32 v82, vcc_lo, s15, v26, vcc_lo
	v_mad_u64_u32 v[25:26], null, s2, v34, 0
	v_mul_u32_u24_e32 v77, 0x121, v72
	v_mul_u32_u24_e32 v78, 0x121, v74
	v_add_nc_u32_e32 v92, 0x121, v34
	v_sub_nc_u32_e32 v45, v45, v21
	v_mul_u32_u24_e32 v79, 0x121, v31
	v_mul_u32_u24_e32 v80, 0x121, v73
	v_sub_nc_u32_e32 v75, v63, v75
	v_sub_nc_u32_e32 v76, v64, v76
	;; [unrolled: 1-line block ×3, first 2 shown]
	v_add_co_u32 v21, vcc_lo, v81, v23
	v_sub_nc_u32_e32 v66, v66, v78
	v_add_co_ci_u32_e32 v23, vcc_lo, v82, v24, vcc_lo
	v_mad_u64_u32 v[63:64], null, s2, v92, 0
	v_mad_u32_u24 v94, 0x242, v69, v45
	v_mov_b32_e32 v24, v26
	v_sub_nc_u32_e32 v67, v67, v79
	v_sub_nc_u32_e32 v68, v68, v80
	v_mad_u32_u24 v95, 0x242, v70, v75
	v_mad_u32_u24 v96, 0x242, v71, v76
	;; [unrolled: 1-line block ×4, first 2 shown]
	v_mad_u64_u32 v[65:66], null, s2, v94, 0
	v_mad_u64_u32 v[79:80], null, s3, v34, v[24:25]
	v_mad_u32_u24 v103, 0x242, v31, v67
	v_mad_u32_u24 v104, 0x242, v73, v68
	v_add_nc_u32_e32 v99, 0x121, v94
	v_mad_u64_u32 v[67:68], null, s2, v95, 0
	v_add_nc_u32_e32 v100, 0x121, v95
	v_mad_u64_u32 v[69:70], null, s2, v96, 0
	;; [unrolled: 2-line block ×3, first 2 shown]
	v_add_nc_u32_e32 v102, 0x121, v97
	v_mov_b32_e32 v24, v64
	v_add_nc_u32_e32 v105, 0x121, v98
	v_mad_u64_u32 v[73:74], null, s2, v98, 0
	v_add_nc_u32_e32 v106, 0x121, v103
	v_mad_u64_u32 v[80:81], null, s2, v99, 0
	v_mad_u64_u32 v[82:83], null, s2, v100, 0
	;; [unrolled: 1-line block ×5, first 2 shown]
	v_mov_b32_e32 v24, v66
	v_mov_b32_e32 v26, v79
	v_mad_u64_u32 v[88:89], null, s2, v105, 0
	v_mov_b32_e32 v31, v68
	v_mov_b32_e32 v34, v70
	v_mad_u64_u32 v[90:91], null, s2, v106, 0
	;; [unrolled: 3-line block ×3, first 2 shown]
	v_lshlrev_b64 v[25:26], 3, v[25:26]
	v_mov_b32_e32 v24, v81
	v_mov_b32_e32 v66, v89
	;; [unrolled: 1-line block ×3, first 2 shown]
	v_mad_u64_u32 v[75:76], null, s2, v103, 0
	v_mad_u64_u32 v[77:78], null, s2, v104, 0
	s_waitcnt vmcnt(7)
	v_mad_u64_u32 v[94:95], null, s3, v95, v[31:32]
	v_mov_b32_e32 v31, v83
	v_mad_u64_u32 v[95:96], null, s3, v96, v[34:35]
	v_mov_b32_e32 v34, v85
	s_waitcnt lgkmcnt(4)
	v_mad_u64_u32 v[96:97], null, s3, v97, v[45:46]
	v_mov_b32_e32 v45, v87
	v_mad_u64_u32 v[97:98], null, s3, v98, v[64:65]
	v_mov_b32_e32 v64, v92
	v_mad_u64_u32 v[91:92], null, s3, v99, v[24:25]
	v_mad_u64_u32 v[98:99], null, s3, v100, v[31:32]
	;; [unrolled: 1-line block ×5, first 2 shown]
	v_mov_b32_e32 v66, v93
	v_lshlrev_b64 v[63:64], 3, v[63:64]
	v_mov_b32_e32 v68, v94
	v_add_co_u32 v24, vcc_lo, v21, v25
	v_lshlrev_b64 v[65:66], 3, v[65:66]
	v_mov_b32_e32 v70, v95
	v_add_co_ci_u32_e32 v25, vcc_lo, v23, v26, vcc_lo
	v_lshlrev_b64 v[67:68], 3, v[67:68]
	v_add_co_u32 v63, vcc_lo, v21, v63
	v_mov_b32_e32 v72, v96
	v_add_co_ci_u32_e32 v64, vcc_lo, v23, v64, vcc_lo
	v_lshlrev_b64 v[69:70], 3, v[69:70]
	v_add_co_u32 v65, vcc_lo, v21, v65
	;; [unrolled: 4-line block ×7, first 2 shown]
	v_add_co_ci_u32_e32 v81, vcc_lo, v23, v81, vcc_lo
	v_lshlrev_b64 v[86:87], 3, v[86:87]
	v_add_co_u32 v82, vcc_lo, v21, v82
	v_mul_f32_e32 v26, v7, v33
	v_mul_f32_e32 v45, v15, v33
	v_add_co_ci_u32_e32 v83, vcc_lo, v23, v83, vcc_lo
	v_add_co_u32 v84, vcc_lo, v21, v84
	v_add_co_ci_u32_e32 v85, vcc_lo, v23, v85, vcc_lo
	v_add_co_u32 v33, vcc_lo, v21, v86
	v_fma_f32 v15, v15, v32, -v26
	v_fmac_f32_e32 v45, v7, v32
	s_waitcnt vmcnt(6)
	v_mul_f32_e32 v7, v6, v52
	v_mul_f32_e32 v26, v14, v52
	s_waitcnt vmcnt(5)
	v_mul_f32_e32 v32, v5, v58
	s_waitcnt vmcnt(0)
	v_mul_f32_e32 v93, v0, v62
	v_mul_f32_e32 v62, v8, v62
	v_add_co_ci_u32_e32 v34, vcc_lo, v23, v87, vcc_lo
	v_mul_f32_e32 v52, v13, v58
	v_mul_f32_e32 v58, v4, v55
	;; [unrolled: 1-line block ×9, first 2 shown]
	s_waitcnt lgkmcnt(0)
	v_sub_f32_e32 v31, v50, v15
	v_fma_f32 v7, v14, v51, -v7
	v_fmac_f32_e32 v26, v6, v51
	v_fma_f32 v6, v13, v57, -v32
	v_fma_f32 v15, v8, v61, -v93
	v_fmac_f32_e32 v62, v0, v61
	v_fmac_f32_e32 v52, v5, v57
	v_fma_f32 v12, v12, v54, -v58
	v_fma_f32 v11, v11, v29, -v86
	v_fmac_f32_e32 v87, v3, v29
	v_fma_f32 v13, v10, v59, -v91
	v_fma_f32 v14, v9, v27, -v92
	v_fmac_f32_e32 v28, v1, v27
	v_fmac_f32_e32 v60, v2, v59
	;; [unrolled: 1-line block ×3, first 2 shown]
	v_sub_f32_e32 v4, v49, v7
	v_sub_f32_e32 v3, v44, v26
	;; [unrolled: 1-line block ×15, first 2 shown]
	v_fma_f32 v29, v49, 2.0, -v4
	v_fma_f32 v45, v48, 2.0, -v6
	;; [unrolled: 1-line block ×11, first 2 shown]
	v_add_nc_u32_e32 v15, 0x121, v104
	v_fma_f32 v19, v42, 2.0, -v12
	v_fma_f32 v18, v18, 2.0, -v11
	;; [unrolled: 1-line block ×3, first 2 shown]
	global_store_dwordx2 v[24:25], v[48:49], off
	global_store_dwordx2 v[63:64], v[26:27], off
	;; [unrolled: 1-line block ×11, first 2 shown]
	v_mad_u64_u32 v[7:8], null, s3, v103, v[76:77]
	v_mov_b32_e32 v89, v101
	v_mad_u64_u32 v[8:9], null, s3, v106, v[79:80]
	v_mad_u64_u32 v[9:10], null, s2, v15, 0
	v_fma_f32 v1, v56, 2.0, -v30
	v_mov_b32_e32 v0, v78
	v_lshlrev_b64 v[88:89], 3, v[88:89]
	v_mov_b32_e32 v76, v7
	v_mov_b32_e32 v91, v8
	v_fma_f32 v2, v50, 2.0, -v31
	v_mad_u64_u32 v[13:14], null, s3, v104, v[0:1]
	v_mov_b32_e32 v0, v10
	v_add_co_u32 v11, vcc_lo, v21, v88
	v_add_co_ci_u32_e32 v12, vcc_lo, v23, v89, vcc_lo
	v_mad_u64_u32 v[7:8], null, s3, v15, v[0:1]
	v_mov_b32_e32 v78, v13
	global_store_dwordx2 v[11:12], v[5:6], off
	v_lshlrev_b64 v[5:6], 3, v[75:76]
	v_lshlrev_b64 v[11:12], 3, v[90:91]
	v_add_nc_u32_e32 v0, 0x110, v20
	v_lshlrev_b64 v[13:14], 3, v[77:78]
	v_mov_b32_e32 v10, v7
	v_add_co_u32 v5, vcc_lo, v21, v5
	v_add_co_ci_u32_e32 v6, vcc_lo, v23, v6, vcc_lo
	v_add_co_u32 v7, vcc_lo, v21, v11
	v_lshlrev_b64 v[9:10], 3, v[9:10]
	v_add_co_ci_u32_e32 v8, vcc_lo, v23, v12, vcc_lo
	v_add_co_u32 v11, vcc_lo, v21, v13
	v_add_co_ci_u32_e32 v12, vcc_lo, v23, v14, vcc_lo
	v_add_co_u32 v9, vcc_lo, v21, v9
	v_add_co_ci_u32_e32 v10, vcc_lo, v23, v10, vcc_lo
	v_cmp_gt_u32_e32 vcc_lo, 0x121, v0
	global_store_dwordx2 v[5:6], v[28:29], off
	global_store_dwordx2 v[7:8], v[3:4], off
	;; [unrolled: 1-line block ×4, first 2 shown]
	s_and_b32 exec_lo, exec_lo, vcc_lo
	s_cbranch_execz .LBB0_19
; %bb.18:
	v_mov_b32_e32 v36, v22
	v_add_nc_u32_e32 v9, 0x231, v20
	v_mad_u64_u32 v[3:4], null, s2, v0, 0
	v_lshlrev_b64 v[1:2], 3, v[35:36]
	v_mad_u64_u32 v[5:6], null, s2, v9, 0
	v_add_co_u32 v1, vcc_lo, s8, v1
	v_add_co_ci_u32_e32 v2, vcc_lo, s9, v2, vcc_lo
	v_mad_u64_u32 v[7:8], null, s3, v0, v[4:5]
	v_add_co_u32 v1, vcc_lo, 0x800, v1
	v_add_co_ci_u32_e32 v2, vcc_lo, 0, v2, vcc_lo
	v_mad_u64_u32 v[8:9], null, s3, v9, v[6:7]
	global_load_dwordx2 v[1:2], v[1:2], off offset:128
	v_mov_b32_e32 v4, v7
	v_mov_b32_e32 v6, v8
	s_waitcnt vmcnt(0)
	v_mul_f32_e32 v9, v41, v2
	v_mul_f32_e32 v0, v17, v2
	v_fmac_f32_e32 v9, v17, v1
	v_fma_f32 v7, v41, v1, -v0
	v_lshlrev_b64 v[0:1], 3, v[3:4]
	v_lshlrev_b64 v[2:3], 3, v[5:6]
	v_sub_f32_e32 v4, v16, v9
	v_sub_f32_e32 v5, v40, v7
	v_add_co_u32 v0, vcc_lo, v21, v0
	v_add_co_ci_u32_e32 v1, vcc_lo, v23, v1, vcc_lo
	v_add_co_u32 v2, vcc_lo, v21, v2
	v_fma_f32 v6, v16, 2.0, -v4
	v_fma_f32 v7, v40, 2.0, -v5
	v_add_co_ci_u32_e32 v3, vcc_lo, v23, v3, vcc_lo
	global_store_dwordx2 v[0:1], v[6:7], off
	global_store_dwordx2 v[2:3], v[4:5], off
.LBB0_19:
	s_endpgm
	.section	.rodata,"a",@progbits
	.p2align	6, 0x0
	.amdhsa_kernel fft_rtc_back_len578_factors_17_17_2_wgs_238_tpt_34_halfLds_sp_op_CI_CI_sbrr_dirReg
		.amdhsa_group_segment_fixed_size 0
		.amdhsa_private_segment_fixed_size 0
		.amdhsa_kernarg_size 104
		.amdhsa_user_sgpr_count 6
		.amdhsa_user_sgpr_private_segment_buffer 1
		.amdhsa_user_sgpr_dispatch_ptr 0
		.amdhsa_user_sgpr_queue_ptr 0
		.amdhsa_user_sgpr_kernarg_segment_ptr 1
		.amdhsa_user_sgpr_dispatch_id 0
		.amdhsa_user_sgpr_flat_scratch_init 0
		.amdhsa_user_sgpr_private_segment_size 0
		.amdhsa_wavefront_size32 1
		.amdhsa_uses_dynamic_stack 0
		.amdhsa_system_sgpr_private_segment_wavefront_offset 0
		.amdhsa_system_sgpr_workgroup_id_x 1
		.amdhsa_system_sgpr_workgroup_id_y 0
		.amdhsa_system_sgpr_workgroup_id_z 0
		.amdhsa_system_sgpr_workgroup_info 0
		.amdhsa_system_vgpr_workitem_id 0
		.amdhsa_next_free_vgpr 136
		.amdhsa_next_free_sgpr 31
		.amdhsa_reserve_vcc 1
		.amdhsa_reserve_flat_scratch 0
		.amdhsa_float_round_mode_32 0
		.amdhsa_float_round_mode_16_64 0
		.amdhsa_float_denorm_mode_32 3
		.amdhsa_float_denorm_mode_16_64 3
		.amdhsa_dx10_clamp 1
		.amdhsa_ieee_mode 1
		.amdhsa_fp16_overflow 0
		.amdhsa_workgroup_processor_mode 1
		.amdhsa_memory_ordered 1
		.amdhsa_forward_progress 0
		.amdhsa_shared_vgpr_count 0
		.amdhsa_exception_fp_ieee_invalid_op 0
		.amdhsa_exception_fp_denorm_src 0
		.amdhsa_exception_fp_ieee_div_zero 0
		.amdhsa_exception_fp_ieee_overflow 0
		.amdhsa_exception_fp_ieee_underflow 0
		.amdhsa_exception_fp_ieee_inexact 0
		.amdhsa_exception_int_div_zero 0
	.end_amdhsa_kernel
	.text
.Lfunc_end0:
	.size	fft_rtc_back_len578_factors_17_17_2_wgs_238_tpt_34_halfLds_sp_op_CI_CI_sbrr_dirReg, .Lfunc_end0-fft_rtc_back_len578_factors_17_17_2_wgs_238_tpt_34_halfLds_sp_op_CI_CI_sbrr_dirReg
                                        ; -- End function
	.section	.AMDGPU.csdata,"",@progbits
; Kernel info:
; codeLenInByte = 15840
; NumSgprs: 33
; NumVgprs: 136
; ScratchSize: 0
; MemoryBound: 0
; FloatMode: 240
; IeeeMode: 1
; LDSByteSize: 0 bytes/workgroup (compile time only)
; SGPRBlocks: 4
; VGPRBlocks: 16
; NumSGPRsForWavesPerEU: 33
; NumVGPRsForWavesPerEU: 136
; Occupancy: 7
; WaveLimiterHint : 1
; COMPUTE_PGM_RSRC2:SCRATCH_EN: 0
; COMPUTE_PGM_RSRC2:USER_SGPR: 6
; COMPUTE_PGM_RSRC2:TRAP_HANDLER: 0
; COMPUTE_PGM_RSRC2:TGID_X_EN: 1
; COMPUTE_PGM_RSRC2:TGID_Y_EN: 0
; COMPUTE_PGM_RSRC2:TGID_Z_EN: 0
; COMPUTE_PGM_RSRC2:TIDIG_COMP_CNT: 0
	.text
	.p2alignl 6, 3214868480
	.fill 48, 4, 3214868480
	.type	__hip_cuid_a7aeeb14c59e6696,@object ; @__hip_cuid_a7aeeb14c59e6696
	.section	.bss,"aw",@nobits
	.globl	__hip_cuid_a7aeeb14c59e6696
__hip_cuid_a7aeeb14c59e6696:
	.byte	0                               ; 0x0
	.size	__hip_cuid_a7aeeb14c59e6696, 1

	.ident	"AMD clang version 19.0.0git (https://github.com/RadeonOpenCompute/llvm-project roc-6.4.0 25133 c7fe45cf4b819c5991fe208aaa96edf142730f1d)"
	.section	".note.GNU-stack","",@progbits
	.addrsig
	.addrsig_sym __hip_cuid_a7aeeb14c59e6696
	.amdgpu_metadata
---
amdhsa.kernels:
  - .args:
      - .actual_access:  read_only
        .address_space:  global
        .offset:         0
        .size:           8
        .value_kind:     global_buffer
      - .offset:         8
        .size:           8
        .value_kind:     by_value
      - .actual_access:  read_only
        .address_space:  global
        .offset:         16
        .size:           8
        .value_kind:     global_buffer
      - .actual_access:  read_only
        .address_space:  global
        .offset:         24
        .size:           8
        .value_kind:     global_buffer
      - .actual_access:  read_only
        .address_space:  global
        .offset:         32
        .size:           8
        .value_kind:     global_buffer
      - .offset:         40
        .size:           8
        .value_kind:     by_value
      - .actual_access:  read_only
        .address_space:  global
        .offset:         48
        .size:           8
        .value_kind:     global_buffer
      - .actual_access:  read_only
        .address_space:  global
        .offset:         56
        .size:           8
        .value_kind:     global_buffer
      - .offset:         64
        .size:           4
        .value_kind:     by_value
      - .actual_access:  read_only
        .address_space:  global
        .offset:         72
        .size:           8
        .value_kind:     global_buffer
      - .actual_access:  read_only
        .address_space:  global
        .offset:         80
        .size:           8
        .value_kind:     global_buffer
      - .actual_access:  read_only
        .address_space:  global
        .offset:         88
        .size:           8
        .value_kind:     global_buffer
      - .actual_access:  write_only
        .address_space:  global
        .offset:         96
        .size:           8
        .value_kind:     global_buffer
    .group_segment_fixed_size: 0
    .kernarg_segment_align: 8
    .kernarg_segment_size: 104
    .language:       OpenCL C
    .language_version:
      - 2
      - 0
    .max_flat_workgroup_size: 238
    .name:           fft_rtc_back_len578_factors_17_17_2_wgs_238_tpt_34_halfLds_sp_op_CI_CI_sbrr_dirReg
    .private_segment_fixed_size: 0
    .sgpr_count:     33
    .sgpr_spill_count: 0
    .symbol:         fft_rtc_back_len578_factors_17_17_2_wgs_238_tpt_34_halfLds_sp_op_CI_CI_sbrr_dirReg.kd
    .uniform_work_group_size: 1
    .uses_dynamic_stack: false
    .vgpr_count:     136
    .vgpr_spill_count: 0
    .wavefront_size: 32
    .workgroup_processor_mode: 1
amdhsa.target:   amdgcn-amd-amdhsa--gfx1030
amdhsa.version:
  - 1
  - 2
...

	.end_amdgpu_metadata
